;; amdgpu-corpus repo=ROCm/rocFFT kind=compiled arch=gfx1030 opt=O3
	.text
	.amdgcn_target "amdgcn-amd-amdhsa--gfx1030"
	.amdhsa_code_object_version 6
	.protected	fft_rtc_fwd_len2401_factors_7_7_7_7_wgs_49_tpt_49_halfLds_dp_op_CI_CI_sbrr_dirReg ; -- Begin function fft_rtc_fwd_len2401_factors_7_7_7_7_wgs_49_tpt_49_halfLds_dp_op_CI_CI_sbrr_dirReg
	.globl	fft_rtc_fwd_len2401_factors_7_7_7_7_wgs_49_tpt_49_halfLds_dp_op_CI_CI_sbrr_dirReg
	.p2align	8
	.type	fft_rtc_fwd_len2401_factors_7_7_7_7_wgs_49_tpt_49_halfLds_dp_op_CI_CI_sbrr_dirReg,@function
fft_rtc_fwd_len2401_factors_7_7_7_7_wgs_49_tpt_49_halfLds_dp_op_CI_CI_sbrr_dirReg: ; @fft_rtc_fwd_len2401_factors_7_7_7_7_wgs_49_tpt_49_halfLds_dp_op_CI_CI_sbrr_dirReg
; %bb.0:
	s_clause 0x2
	s_load_dwordx4 s[16:19], s[4:5], 0x18
	s_load_dwordx4 s[12:15], s[4:5], 0x0
	;; [unrolled: 1-line block ×3, first 2 shown]
	s_mov_b64 s[38:39], s[2:3]
	s_mov_b64 s[36:37], s[0:1]
	v_mul_u32_u24_e32 v2, 0x53a, v0
	v_mov_b32_e32 v1, 0
	v_mov_b32_e32 v4, 0
	v_mov_b32_e32 v5, 0
	s_add_u32 s36, s36, s7
	v_add_nc_u32_sdwa v6, s6, v2 dst_sel:DWORD dst_unused:UNUSED_PAD src0_sel:DWORD src1_sel:WORD_1
	v_mov_b32_e32 v7, v1
	s_addc_u32 s37, s37, 0
	s_waitcnt lgkmcnt(0)
	s_load_dwordx2 s[20:21], s[16:17], 0x0
	s_load_dwordx2 s[2:3], s[18:19], 0x0
	v_cmp_lt_u64_e64 s0, s[14:15], 2
	s_and_b32 vcc_lo, exec_lo, s0
	s_cbranch_vccnz .LBB0_8
; %bb.1:
	s_load_dwordx2 s[0:1], s[4:5], 0x10
	v_mov_b32_e32 v4, 0
	v_mov_b32_e32 v5, 0
	s_add_u32 s6, s18, 8
	s_addc_u32 s7, s19, 0
	s_add_u32 s22, s16, 8
	s_addc_u32 s23, s17, 0
	v_mov_b32_e32 v197, v5
	v_mov_b32_e32 v196, v4
	s_mov_b64 s[26:27], 1
	s_waitcnt lgkmcnt(0)
	s_add_u32 s24, s0, 8
	s_addc_u32 s25, s1, 0
.LBB0_2:                                ; =>This Inner Loop Header: Depth=1
	s_load_dwordx2 s[28:29], s[24:25], 0x0
                                        ; implicit-def: $vgpr198_vgpr199
	s_mov_b32 s0, exec_lo
	s_waitcnt lgkmcnt(0)
	v_or_b32_e32 v2, s29, v7
	v_cmpx_ne_u64_e32 0, v[1:2]
	s_xor_b32 s1, exec_lo, s0
	s_cbranch_execz .LBB0_4
; %bb.3:                                ;   in Loop: Header=BB0_2 Depth=1
	v_cvt_f32_u32_e32 v2, s28
	v_cvt_f32_u32_e32 v3, s29
	s_sub_u32 s0, 0, s28
	s_subb_u32 s30, 0, s29
	v_fmac_f32_e32 v2, 0x4f800000, v3
	v_rcp_f32_e32 v2, v2
	v_mul_f32_e32 v2, 0x5f7ffffc, v2
	v_mul_f32_e32 v3, 0x2f800000, v2
	v_trunc_f32_e32 v3, v3
	v_fmac_f32_e32 v2, 0xcf800000, v3
	v_cvt_u32_f32_e32 v3, v3
	v_cvt_u32_f32_e32 v2, v2
	v_mul_lo_u32 v8, s0, v3
	v_mul_hi_u32 v9, s0, v2
	v_mul_lo_u32 v10, s30, v2
	v_add_nc_u32_e32 v8, v9, v8
	v_mul_lo_u32 v9, s0, v2
	v_add_nc_u32_e32 v8, v8, v10
	v_mul_hi_u32 v10, v2, v9
	v_mul_lo_u32 v11, v2, v8
	v_mul_hi_u32 v12, v2, v8
	v_mul_hi_u32 v13, v3, v9
	v_mul_lo_u32 v9, v3, v9
	v_mul_hi_u32 v14, v3, v8
	v_mul_lo_u32 v8, v3, v8
	v_add_co_u32 v10, vcc_lo, v10, v11
	v_add_co_ci_u32_e32 v11, vcc_lo, 0, v12, vcc_lo
	v_add_co_u32 v9, vcc_lo, v10, v9
	v_add_co_ci_u32_e32 v9, vcc_lo, v11, v13, vcc_lo
	v_add_co_ci_u32_e32 v10, vcc_lo, 0, v14, vcc_lo
	v_add_co_u32 v8, vcc_lo, v9, v8
	v_add_co_ci_u32_e32 v9, vcc_lo, 0, v10, vcc_lo
	v_add_co_u32 v2, vcc_lo, v2, v8
	v_add_co_ci_u32_e32 v3, vcc_lo, v3, v9, vcc_lo
	v_mul_hi_u32 v8, s0, v2
	v_mul_lo_u32 v10, s30, v2
	v_mul_lo_u32 v9, s0, v3
	v_add_nc_u32_e32 v8, v8, v9
	v_mul_lo_u32 v9, s0, v2
	v_add_nc_u32_e32 v8, v8, v10
	v_mul_hi_u32 v10, v2, v9
	v_mul_lo_u32 v11, v2, v8
	v_mul_hi_u32 v12, v2, v8
	v_mul_hi_u32 v13, v3, v9
	v_mul_lo_u32 v9, v3, v9
	v_mul_hi_u32 v14, v3, v8
	v_mul_lo_u32 v8, v3, v8
	v_add_co_u32 v10, vcc_lo, v10, v11
	v_add_co_ci_u32_e32 v11, vcc_lo, 0, v12, vcc_lo
	v_add_co_u32 v9, vcc_lo, v10, v9
	v_add_co_ci_u32_e32 v9, vcc_lo, v11, v13, vcc_lo
	v_add_co_ci_u32_e32 v10, vcc_lo, 0, v14, vcc_lo
	v_add_co_u32 v8, vcc_lo, v9, v8
	v_add_co_ci_u32_e32 v9, vcc_lo, 0, v10, vcc_lo
	v_add_co_u32 v8, vcc_lo, v2, v8
	v_add_co_ci_u32_e32 v10, vcc_lo, v3, v9, vcc_lo
	v_mul_hi_u32 v12, v6, v8
	v_mad_u64_u32 v[8:9], null, v7, v8, 0
	v_mad_u64_u32 v[2:3], null, v6, v10, 0
	;; [unrolled: 1-line block ×3, first 2 shown]
	v_add_co_u32 v2, vcc_lo, v12, v2
	v_add_co_ci_u32_e32 v3, vcc_lo, 0, v3, vcc_lo
	v_add_co_u32 v2, vcc_lo, v2, v8
	v_add_co_ci_u32_e32 v2, vcc_lo, v3, v9, vcc_lo
	v_add_co_ci_u32_e32 v3, vcc_lo, 0, v11, vcc_lo
	v_add_co_u32 v8, vcc_lo, v2, v10
	v_add_co_ci_u32_e32 v9, vcc_lo, 0, v3, vcc_lo
	v_mul_lo_u32 v10, s29, v8
	v_mad_u64_u32 v[2:3], null, s28, v8, 0
	v_mul_lo_u32 v11, s28, v9
	v_sub_co_u32 v2, vcc_lo, v6, v2
	v_add3_u32 v3, v3, v11, v10
	v_sub_nc_u32_e32 v10, v7, v3
	v_subrev_co_ci_u32_e64 v10, s0, s29, v10, vcc_lo
	v_add_co_u32 v11, s0, v8, 2
	v_add_co_ci_u32_e64 v12, s0, 0, v9, s0
	v_sub_co_u32 v13, s0, v2, s28
	v_sub_co_ci_u32_e32 v3, vcc_lo, v7, v3, vcc_lo
	v_subrev_co_ci_u32_e64 v10, s0, 0, v10, s0
	v_cmp_le_u32_e32 vcc_lo, s28, v13
	v_cmp_eq_u32_e64 s0, s29, v3
	v_cndmask_b32_e64 v13, 0, -1, vcc_lo
	v_cmp_le_u32_e32 vcc_lo, s29, v10
	v_cndmask_b32_e64 v14, 0, -1, vcc_lo
	v_cmp_le_u32_e32 vcc_lo, s28, v2
	;; [unrolled: 2-line block ×3, first 2 shown]
	v_cndmask_b32_e64 v15, 0, -1, vcc_lo
	v_cmp_eq_u32_e32 vcc_lo, s29, v10
	v_cndmask_b32_e64 v2, v15, v2, s0
	v_cndmask_b32_e32 v10, v14, v13, vcc_lo
	v_add_co_u32 v13, vcc_lo, v8, 1
	v_add_co_ci_u32_e32 v14, vcc_lo, 0, v9, vcc_lo
	v_cmp_ne_u32_e32 vcc_lo, 0, v10
	v_cndmask_b32_e32 v3, v14, v12, vcc_lo
	v_cndmask_b32_e32 v10, v13, v11, vcc_lo
	v_cmp_ne_u32_e32 vcc_lo, 0, v2
	v_cndmask_b32_e32 v199, v9, v3, vcc_lo
	v_cndmask_b32_e32 v198, v8, v10, vcc_lo
.LBB0_4:                                ;   in Loop: Header=BB0_2 Depth=1
	s_andn2_saveexec_b32 s0, s1
	s_cbranch_execz .LBB0_6
; %bb.5:                                ;   in Loop: Header=BB0_2 Depth=1
	v_cvt_f32_u32_e32 v2, s28
	s_sub_i32 s1, 0, s28
	v_mov_b32_e32 v199, v1
	v_rcp_iflag_f32_e32 v2, v2
	v_mul_f32_e32 v2, 0x4f7ffffe, v2
	v_cvt_u32_f32_e32 v2, v2
	v_mul_lo_u32 v3, s1, v2
	v_mul_hi_u32 v3, v2, v3
	v_add_nc_u32_e32 v2, v2, v3
	v_mul_hi_u32 v2, v6, v2
	v_mul_lo_u32 v3, v2, s28
	v_add_nc_u32_e32 v8, 1, v2
	v_sub_nc_u32_e32 v3, v6, v3
	v_subrev_nc_u32_e32 v9, s28, v3
	v_cmp_le_u32_e32 vcc_lo, s28, v3
	v_cndmask_b32_e32 v3, v3, v9, vcc_lo
	v_cndmask_b32_e32 v2, v2, v8, vcc_lo
	v_cmp_le_u32_e32 vcc_lo, s28, v3
	v_add_nc_u32_e32 v8, 1, v2
	v_cndmask_b32_e32 v198, v2, v8, vcc_lo
.LBB0_6:                                ;   in Loop: Header=BB0_2 Depth=1
	s_or_b32 exec_lo, exec_lo, s0
	v_mul_lo_u32 v8, v199, s28
	v_mul_lo_u32 v9, v198, s29
	s_load_dwordx2 s[0:1], s[22:23], 0x0
	v_mad_u64_u32 v[2:3], null, v198, s28, 0
	s_load_dwordx2 s[28:29], s[6:7], 0x0
	s_add_u32 s26, s26, 1
	s_addc_u32 s27, s27, 0
	s_add_u32 s6, s6, 8
	s_addc_u32 s7, s7, 0
	s_add_u32 s22, s22, 8
	v_add3_u32 v3, v3, v9, v8
	v_sub_co_u32 v2, vcc_lo, v6, v2
	s_addc_u32 s23, s23, 0
	s_add_u32 s24, s24, 8
	v_sub_co_ci_u32_e32 v3, vcc_lo, v7, v3, vcc_lo
	s_addc_u32 s25, s25, 0
	s_waitcnt lgkmcnt(0)
	v_mul_lo_u32 v6, s0, v3
	v_mul_lo_u32 v7, s1, v2
	v_mad_u64_u32 v[4:5], null, s0, v2, v[4:5]
	v_mul_lo_u32 v3, s28, v3
	v_mul_lo_u32 v8, s29, v2
	v_mad_u64_u32 v[196:197], null, s28, v2, v[196:197]
	v_cmp_ge_u64_e64 s0, s[26:27], s[14:15]
	v_add3_u32 v5, v7, v5, v6
	v_add3_u32 v197, v8, v197, v3
	s_and_b32 vcc_lo, exec_lo, s0
	s_cbranch_vccnz .LBB0_9
; %bb.7:                                ;   in Loop: Header=BB0_2 Depth=1
	v_mov_b32_e32 v6, v198
	v_mov_b32_e32 v7, v199
	s_branch .LBB0_2
.LBB0_8:
	v_mov_b32_e32 v197, v5
	v_mov_b32_e32 v199, v7
	;; [unrolled: 1-line block ×4, first 2 shown]
.LBB0_9:
	s_load_dwordx2 s[0:1], s[4:5], 0x28
	v_mul_hi_u32 v1, 0x539782a, v0
	s_lshl_b64 s[4:5], s[14:15], 3
                                        ; implicit-def: $vgpr238
                                        ; implicit-def: $vgpr239
                                        ; implicit-def: $vgpr241
                                        ; implicit-def: $vgpr242
                                        ; implicit-def: $vgpr243
                                        ; implicit-def: $vgpr244
                                        ; implicit-def: $vgpr240
	s_add_u32 s26, s18, s4
	s_addc_u32 s27, s19, s5
	s_waitcnt lgkmcnt(0)
	v_cmp_gt_u64_e32 vcc_lo, s[0:1], v[198:199]
	v_cmp_le_u64_e64 s0, s[0:1], v[198:199]
	s_and_saveexec_b32 s1, s0
	s_xor_b32 s0, exec_lo, s1
; %bb.10:
	v_mul_u32_u24_e32 v1, 49, v1
                                        ; implicit-def: $vgpr4_vgpr5
	v_sub_nc_u32_e32 v238, v0, v1
                                        ; implicit-def: $vgpr1
                                        ; implicit-def: $vgpr0
	v_add_nc_u32_e32 v239, 49, v238
	v_add_nc_u32_e32 v241, 0x62, v238
	v_add_nc_u32_e32 v242, 0x93, v238
	v_add_nc_u32_e32 v243, 0xc4, v238
	v_add_nc_u32_e32 v244, 0xf5, v238
	v_add_nc_u32_e32 v240, 0x126, v238
; %bb.11:
	s_or_saveexec_b32 s6, s0
                                        ; implicit-def: $vgpr46_vgpr47
                                        ; implicit-def: $vgpr62_vgpr63
                                        ; implicit-def: $vgpr54_vgpr55
                                        ; implicit-def: $vgpr50_vgpr51
                                        ; implicit-def: $vgpr58_vgpr59
                                        ; implicit-def: $vgpr42_vgpr43
                                        ; implicit-def: $vgpr6_vgpr7
                                        ; implicit-def: $vgpr70_vgpr71
                                        ; implicit-def: $vgpr86_vgpr87
                                        ; implicit-def: $vgpr78_vgpr79
                                        ; implicit-def: $vgpr74_vgpr75
                                        ; implicit-def: $vgpr82_vgpr83
                                        ; implicit-def: $vgpr66_vgpr67
                                        ; implicit-def: $vgpr10_vgpr11
                                        ; implicit-def: $vgpr94_vgpr95
                                        ; implicit-def: $vgpr110_vgpr111
                                        ; implicit-def: $vgpr102_vgpr103
                                        ; implicit-def: $vgpr98_vgpr99
                                        ; implicit-def: $vgpr106_vgpr107
                                        ; implicit-def: $vgpr90_vgpr91
                                        ; implicit-def: $vgpr14_vgpr15
                                        ; implicit-def: $vgpr118_vgpr119
                                        ; implicit-def: $vgpr134_vgpr135
                                        ; implicit-def: $vgpr126_vgpr127
                                        ; implicit-def: $vgpr122_vgpr123
                                        ; implicit-def: $vgpr130_vgpr131
                                        ; implicit-def: $vgpr114_vgpr115
                                        ; implicit-def: $vgpr18_vgpr19
                                        ; implicit-def: $vgpr142_vgpr143
                                        ; implicit-def: $vgpr158_vgpr159
                                        ; implicit-def: $vgpr150_vgpr151
                                        ; implicit-def: $vgpr146_vgpr147
                                        ; implicit-def: $vgpr154_vgpr155
                                        ; implicit-def: $vgpr138_vgpr139
                                        ; implicit-def: $vgpr22_vgpr23
                                        ; implicit-def: $vgpr182_vgpr183
                                        ; implicit-def: $vgpr174_vgpr175
                                        ; implicit-def: $vgpr166_vgpr167
                                        ; implicit-def: $vgpr162_vgpr163
                                        ; implicit-def: $vgpr170_vgpr171
                                        ; implicit-def: $vgpr178_vgpr179
                                        ; implicit-def: $vgpr26_vgpr27
                                        ; implicit-def: $vgpr194_vgpr195
                                        ; implicit-def: $vgpr190_vgpr191
                                        ; implicit-def: $vgpr186_vgpr187
                                        ; implicit-def: $vgpr34_vgpr35
                                        ; implicit-def: $vgpr38_vgpr39
                                        ; implicit-def: $vgpr30_vgpr31
                                        ; implicit-def: $vgpr2_vgpr3
	s_xor_b32 exec_lo, exec_lo, s6
	s_cbranch_execz .LBB0_13
; %bb.12:
	s_add_u32 s0, s16, s4
	s_addc_u32 s1, s17, s5
	v_mul_u32_u24_e32 v1, 49, v1
	s_load_dwordx2 s[0:1], s[0:1], 0x0
	v_sub_nc_u32_e32 v238, v0, v1
	v_lshlrev_b64 v[0:1], 4, v[4:5]
	v_add_nc_u32_e32 v15, 0x157, v238
	v_mad_u64_u32 v[2:3], null, s20, v238, 0
	v_add_nc_u32_e32 v17, 0x2ae, v238
	v_add_nc_u32_e32 v18, 0x405, v238
	v_mad_u64_u32 v[4:5], null, s20, v15, 0
	v_add_nc_u32_e32 v19, 0x55c, v238
	v_mad_u64_u32 v[6:7], null, s20, v17, 0
	v_mad_u64_u32 v[10:11], null, s20, v18, 0
	s_waitcnt lgkmcnt(0)
	v_mul_lo_u32 v16, s1, v198
	v_mul_lo_u32 v20, s0, v199
	v_mad_u64_u32 v[8:9], null, s0, v198, 0
	v_mad_u64_u32 v[12:13], null, s21, v238, v[3:4]
	v_mov_b32_e32 v3, v5
	v_mov_b32_e32 v5, v7
	;; [unrolled: 1-line block ×3, first 2 shown]
	v_mad_u64_u32 v[13:14], null, s20, v19, 0
	v_add3_u32 v9, v9, v20, v16
	v_mad_u64_u32 v[15:16], null, s21, v15, v[3:4]
	v_mov_b32_e32 v3, v12
	v_mad_u64_u32 v[11:12], null, s21, v17, v[5:6]
	v_lshlrev_b64 v[8:9], 4, v[8:9]
	v_add_nc_u32_e32 v12, 0x6b3, v238
	v_lshlrev_b64 v[2:3], 4, v[2:3]
	v_mov_b32_e32 v5, v15
	v_add_nc_u32_e32 v239, 49, v238
	v_add_nc_u32_e32 v21, 0x2df, v238
	v_mad_u64_u32 v[16:17], null, s21, v18, v[7:8]
	v_add_co_u32 v7, s0, s8, v8
	v_add_co_ci_u32_e64 v8, s0, s9, v9, s0
	v_add_nc_u32_e32 v17, 0x80a, v238
	v_add_co_u32 v24, s0, v7, v0
	v_add_co_ci_u32_e64 v25, s0, v8, v1, s0
	v_lshlrev_b64 v[0:1], 4, v[4:5]
	v_add_co_u32 v2, s0, v24, v2
	v_add_co_ci_u32_e64 v3, s0, v25, v3, s0
	v_mov_b32_e32 v7, v11
	v_mov_b32_e32 v11, v16
	v_add_co_u32 v4, s0, v24, v0
	v_mov_b32_e32 v0, v14
	v_add_co_ci_u32_e64 v5, s0, v25, v1, s0
	v_lshlrev_b64 v[8:9], 4, v[10:11]
	v_mad_u64_u32 v[10:11], null, s20, v12, 0
	v_lshlrev_b64 v[6:7], 4, v[6:7]
	v_mad_u64_u32 v[0:1], null, s21, v19, v[0:1]
	v_mad_u64_u32 v[15:16], null, s20, v17, 0
	v_add_nc_u32_e32 v19, 0x188, v238
	v_add_co_u32 v6, s0, v24, v6
	v_mov_b32_e32 v1, v11
	v_add_co_ci_u32_e64 v7, s0, v25, v7, s0
	v_mov_b32_e32 v14, v0
	v_add_co_u32 v8, s0, v24, v8
	v_add_co_ci_u32_e64 v9, s0, v25, v9, s0
	v_mad_u64_u32 v[11:12], null, s21, v12, v[1:2]
	s_clause 0x3
	global_load_dwordx4 v[0:3], v[2:3], off
	global_load_dwordx4 v[28:31], v[4:5], off
	;; [unrolled: 1-line block ×4, first 2 shown]
	v_lshlrev_b64 v[4:5], 4, v[13:14]
	v_mov_b32_e32 v6, v16
	v_mad_u64_u32 v[12:13], null, s20, v239, 0
	v_add_nc_u32_e32 v23, 0x436, v238
	v_add_nc_u32_e32 v40, 0x58d, v238
	v_mad_u64_u32 v[6:7], null, s21, v17, v[6:7]
	v_lshlrev_b64 v[7:8], 4, v[10:11]
	v_mad_u64_u32 v[17:18], null, s20, v19, 0
	v_mov_b32_e32 v9, v13
	v_add_co_u32 v4, s0, v24, v4
	v_mov_b32_e32 v16, v6
	v_add_co_ci_u32_e64 v5, s0, v25, v5, s0
	v_mad_u64_u32 v[9:10], null, s21, v239, v[9:10]
	v_add_co_u32 v6, s0, v24, v7
	v_add_co_ci_u32_e64 v7, s0, v25, v8, s0
	v_lshlrev_b64 v[10:11], 4, v[15:16]
	v_mov_b32_e32 v8, v18
	v_mad_u64_u32 v[14:15], null, s20, v21, 0
	v_mov_b32_e32 v13, v9
	v_add_nc_u32_e32 v44, 0x83b, v238
	v_mad_u64_u32 v[18:19], null, s21, v19, v[8:9]
	v_add_co_u32 v8, s0, v24, v10
	v_mad_u64_u32 v[19:20], null, s20, v23, 0
	v_add_co_ci_u32_e64 v9, s0, v25, v11, s0
	v_lshlrev_b64 v[10:11], 4, v[12:13]
	v_mov_b32_e32 v12, v15
	v_lshlrev_b64 v[16:17], 4, v[17:18]
	v_add_nc_u32_e32 v241, 0x62, v238
	v_add_nc_u32_e32 v46, 0x1b9, v238
	;; [unrolled: 1-line block ×3, first 2 shown]
	v_mad_u64_u32 v[12:13], null, s21, v21, v[12:13]
	v_mov_b32_e32 v13, v20
	v_mad_u64_u32 v[21:22], null, s20, v40, 0
	v_add_co_u32 v10, s0, v24, v10
	v_mad_u64_u32 v[26:27], null, s21, v23, v[13:14]
	v_add_nc_u32_e32 v23, 0x6e4, v238
	v_add_co_ci_u32_e64 v11, s0, v25, v11, s0
	v_mov_b32_e32 v15, v12
	v_add_co_u32 v12, s0, v24, v16
	v_mov_b32_e32 v16, v22
	v_mov_b32_e32 v20, v26
	v_mad_u64_u32 v[26:27], null, s20, v23, 0
	v_add_co_ci_u32_e64 v13, s0, v25, v17, s0
	v_mad_u64_u32 v[16:17], null, s21, v40, v[16:17]
	v_lshlrev_b64 v[14:15], 4, v[14:15]
	v_lshlrev_b64 v[17:18], 4, v[19:20]
	v_mov_b32_e32 v19, v27
	v_mad_u64_u32 v[40:41], null, s20, v44, 0
	v_mad_u64_u32 v[42:43], null, s20, v241, 0
	v_mov_b32_e32 v22, v16
	v_mad_u64_u32 v[19:20], null, s21, v23, v[19:20]
	v_add_co_u32 v14, s0, v24, v14
	v_add_co_ci_u32_e64 v15, s0, v25, v15, s0
	v_add_co_u32 v16, s0, v24, v17
	v_lshlrev_b64 v[20:21], 4, v[21:22]
	v_add_co_ci_u32_e64 v17, s0, v25, v18, s0
	v_mov_b32_e32 v18, v41
	v_mov_b32_e32 v27, v19
	v_add_nc_u32_e32 v50, 0x467, v238
	v_add_nc_u32_e32 v52, 0x5be, v238
	;; [unrolled: 1-line block ×3, first 2 shown]
	v_mad_u64_u32 v[22:23], null, s21, v44, v[18:19]
	v_add_co_u32 v18, s0, v24, v20
	v_add_co_ci_u32_e64 v19, s0, v25, v21, s0
	v_lshlrev_b64 v[20:21], 4, v[26:27]
	v_mad_u64_u32 v[26:27], null, s20, v46, 0
	v_mov_b32_e32 v23, v43
	v_mov_b32_e32 v41, v22
	v_mad_u64_u32 v[44:45], null, s20, v48, 0
	v_add_co_u32 v20, s0, v24, v20
	v_mad_u64_u32 v[22:23], null, s21, v241, v[23:24]
	v_mov_b32_e32 v23, v27
	v_lshlrev_b64 v[40:41], 4, v[40:41]
	v_add_co_ci_u32_e64 v21, s0, v25, v21, s0
	v_add_nc_u32_e32 v56, 0x86c, v238
	v_mad_u64_u32 v[46:47], null, s21, v46, v[23:24]
	v_mov_b32_e32 v43, v22
	v_add_co_u32 v22, s0, v24, v40
	v_add_co_ci_u32_e64 v23, s0, v25, v41, s0
	v_lshlrev_b64 v[40:41], 4, v[42:43]
	v_mov_b32_e32 v42, v45
	v_mov_b32_e32 v27, v46
	v_mad_u64_u32 v[46:47], null, s20, v50, 0
	v_add_nc_u32_e32 v242, 0x93, v238
	v_mad_u64_u32 v[42:43], null, s21, v48, v[42:43]
	v_lshlrev_b64 v[26:27], 4, v[26:27]
	v_mad_u64_u32 v[48:49], null, s20, v52, 0
	v_mov_b32_e32 v43, v47
	v_add_co_u32 v40, s0, v24, v40
	v_mov_b32_e32 v45, v42
	v_add_co_ci_u32_e64 v41, s0, v25, v41, s0
	v_mad_u64_u32 v[50:51], null, s21, v50, v[43:44]
	v_add_co_u32 v42, s0, v24, v26
	v_add_co_ci_u32_e64 v43, s0, v25, v27, s0
	v_lshlrev_b64 v[26:27], 4, v[44:45]
	v_mov_b32_e32 v44, v49
	v_mov_b32_e32 v47, v50
	v_mad_u64_u32 v[50:51], null, s20, v54, 0
	v_add_nc_u32_e32 v60, 0x1ea, v238
	v_mad_u64_u32 v[52:53], null, s21, v52, v[44:45]
	v_add_co_u32 v44, s0, v24, v26
	v_add_co_ci_u32_e64 v45, s0, v25, v27, s0
	v_lshlrev_b64 v[26:27], 4, v[46:47]
	v_mov_b32_e32 v46, v51
	v_mov_b32_e32 v49, v52
	v_mad_u64_u32 v[52:53], null, s20, v56, 0
	v_add_nc_u32_e32 v62, 0x341, v238
	;; [unrolled: 8-line block ×14, first 2 shown]
	v_mad_u64_u32 v[70:71], null, s21, v78, v[70:71]
	v_add_co_u32 v78, s0, v24, v26
	v_add_co_ci_u32_e64 v79, s0, v25, v27, s0
	v_lshlrev_b64 v[26:27], 4, v[72:73]
	v_mad_u64_u32 v[72:73], null, s20, v82, 0
	v_mov_b32_e32 v71, v77
	v_mov_b32_e32 v75, v70
	v_add_nc_u32_e32 v88, 0x24c, v238
	v_add_nc_u32_e32 v89, 0x3a3, v238
	;; [unrolled: 1-line block ×4, first 2 shown]
	v_mad_u64_u32 v[70:71], null, s21, v80, v[71:72]
	v_add_co_u32 v80, s0, v24, v26
	v_mov_b32_e32 v71, v73
	v_add_co_ci_u32_e64 v81, s0, v25, v27, s0
	v_lshlrev_b64 v[26:27], 4, v[74:75]
	v_mad_u64_u32 v[74:75], null, s20, v84, 0
	v_mov_b32_e32 v77, v70
	v_mad_u64_u32 v[70:71], null, s21, v82, v[71:72]
	v_add_co_u32 v82, s0, v24, v26
	v_add_co_ci_u32_e64 v83, s0, v25, v27, s0
	v_lshlrev_b64 v[26:27], 4, v[76:77]
	v_mov_b32_e32 v71, v75
	v_mov_b32_e32 v73, v70
	v_mad_u64_u32 v[76:77], null, s20, v244, 0
	v_add_nc_u32_e32 v91, 0x52b, v238
	v_mad_u64_u32 v[70:71], null, s21, v84, v[71:72]
	v_add_co_u32 v84, s0, v24, v26
	v_add_co_ci_u32_e64 v85, s0, v25, v27, s0
	v_lshlrev_b64 v[26:27], 4, v[72:73]
	v_mad_u64_u32 v[72:73], null, s20, v88, 0
	v_mov_b32_e32 v71, v77
	v_mov_b32_e32 v75, v70
	v_add_nc_u32_e32 v94, 0x7d9, v238
	v_add_co_u32 v86, s0, v24, v26
	v_add_co_ci_u32_e64 v87, s0, v25, v27, s0
	v_mad_u64_u32 v[70:71], null, s21, v244, v[71:72]
	v_lshlrev_b64 v[26:27], 4, v[74:75]
	v_mov_b32_e32 v71, v73
	v_mad_u64_u32 v[74:75], null, s20, v89, 0
	v_add_nc_u32_e32 v95, 0x930, v238
	s_clause 0x1
	global_load_dwordx4 v[184:187], v[4:5], off
	global_load_dwordx4 v[188:191], v[6:7], off
	v_mov_b32_e32 v77, v70
	v_mad_u64_u32 v[70:71], null, s21, v88, v[71:72]
	v_add_co_u32 v92, s0, v24, v26
	v_add_nc_u32_e32 v88, 0x4fa, v238
	v_mov_b32_e32 v71, v75
	v_add_co_ci_u32_e64 v93, s0, v25, v27, s0
	v_lshlrev_b64 v[26:27], 4, v[76:77]
	v_mov_b32_e32 v73, v70
	v_mad_u64_u32 v[76:77], null, s20, v88, 0
	v_mad_u64_u32 v[70:71], null, s21, v89, v[71:72]
	v_add_nc_u32_e32 v89, 0x651, v238
	v_add_co_u32 v200, s0, v24, v26
	v_add_co_ci_u32_e64 v201, s0, v25, v27, s0
	v_lshlrev_b64 v[26:27], 4, v[72:73]
	v_mad_u64_u32 v[72:73], null, s20, v89, 0
	v_mov_b32_e32 v71, v77
	v_mov_b32_e32 v75, v70
	v_add_co_u32 v202, s0, v24, v26
	v_add_co_ci_u32_e64 v203, s0, v25, v27, s0
	v_mad_u64_u32 v[70:71], null, s21, v88, v[71:72]
	v_add_nc_u32_e32 v88, 0x7a8, v238
	v_mov_b32_e32 v71, v73
	v_lshlrev_b64 v[26:27], 4, v[74:75]
	v_mad_u64_u32 v[74:75], null, s20, v88, 0
	v_mov_b32_e32 v77, v70
	v_mad_u64_u32 v[70:71], null, s21, v89, v[71:72]
	v_add_co_u32 v204, s0, v24, v26
	v_add_nc_u32_e32 v89, 0x8ff, v238
	v_add_co_ci_u32_e64 v205, s0, v25, v27, s0
	v_lshlrev_b64 v[26:27], 4, v[76:77]
	v_mov_b32_e32 v71, v75
	v_mov_b32_e32 v73, v70
	v_mad_u64_u32 v[76:77], null, s20, v89, 0
	v_add_co_u32 v206, s0, v24, v26
	v_mad_u64_u32 v[70:71], null, s21, v88, v[71:72]
	v_add_co_ci_u32_e64 v207, s0, v25, v27, s0
	v_lshlrev_b64 v[26:27], 4, v[72:73]
	v_mad_u64_u32 v[72:73], null, s20, v240, 0
	v_mov_b32_e32 v71, v77
	v_mov_b32_e32 v75, v70
	v_add_nc_u32_e32 v88, 0x27d, v238
	v_add_co_u32 v208, s0, v24, v26
	v_add_co_ci_u32_e64 v209, s0, v25, v27, s0
	v_mad_u64_u32 v[70:71], null, s21, v89, v[71:72]
	v_lshlrev_b64 v[26:27], 4, v[74:75]
	v_mov_b32_e32 v71, v73
	v_mad_u64_u32 v[74:75], null, s20, v88, 0
	v_mov_b32_e32 v77, v70
	v_add_co_u32 v210, s0, v24, v26
	v_mad_u64_u32 v[70:71], null, s21, v240, v[71:72]
	v_add_co_ci_u32_e64 v211, s0, v25, v27, s0
	v_lshlrev_b64 v[26:27], 4, v[76:77]
	v_mad_u64_u32 v[76:77], null, s20, v90, 0
	v_mov_b32_e32 v71, v75
	v_mov_b32_e32 v73, v70
	v_add_co_u32 v212, s0, v24, v26
	v_mad_u64_u32 v[70:71], null, s21, v88, v[71:72]
	v_mov_b32_e32 v26, v77
	v_mad_u64_u32 v[88:89], null, s20, v91, 0
	v_add_co_ci_u32_e64 v213, s0, v25, v27, s0
	v_lshlrev_b64 v[71:72], 4, v[72:73]
	v_mad_u64_u32 v[26:27], null, s21, v90, v[26:27]
	v_mov_b32_e32 v75, v70
	v_mov_b32_e32 v27, v89
	v_add_nc_u32_e32 v90, 0x682, v238
	v_add_co_u32 v214, s0, v24, v71
	v_add_co_ci_u32_e64 v215, s0, v25, v72, s0
	v_lshlrev_b64 v[70:71], 4, v[74:75]
	v_mov_b32_e32 v77, v26
	s_waitcnt vmcnt(4)
	v_mad_u64_u32 v[26:27], null, s21, v91, v[27:28]
	v_mad_u64_u32 v[72:73], null, s20, v90, 0
	;; [unrolled: 1-line block ×3, first 2 shown]
	v_add_co_u32 v216, s0, v24, v70
	v_add_co_ci_u32_e64 v217, s0, v25, v71, s0
	v_lshlrev_b64 v[70:71], 4, v[76:77]
	v_mov_b32_e32 v89, v26
	v_mov_b32_e32 v26, v73
	;; [unrolled: 1-line block ×3, first 2 shown]
	v_mad_u64_u32 v[76:77], null, s20, v95, 0
	v_add_co_u32 v218, s0, v24, v70
	v_mad_u64_u32 v[90:91], null, s21, v90, v[26:27]
	v_mad_u64_u32 v[26:27], null, s21, v94, v[27:28]
	v_mov_b32_e32 v27, v77
	v_add_co_ci_u32_e64 v219, s0, v25, v71, s0
	v_lshlrev_b64 v[70:71], 4, v[88:89]
	v_mov_b32_e32 v73, v90
	v_mov_b32_e32 v75, v26
	v_mad_u64_u32 v[26:27], null, s21, v95, v[27:28]
	v_add_co_u32 v220, s0, v24, v70
	v_add_co_ci_u32_e64 v221, s0, v25, v71, s0
	v_lshlrev_b64 v[70:71], 4, v[72:73]
	v_lshlrev_b64 v[4:5], 4, v[74:75]
	v_mov_b32_e32 v77, v26
	v_add_co_u32 v222, s0, v24, v70
	v_lshlrev_b64 v[6:7], 4, v[76:77]
	v_add_co_ci_u32_e64 v223, s0, v25, v71, s0
	v_add_co_u32 v224, s0, v24, v4
	v_add_co_ci_u32_e64 v225, s0, v25, v5, s0
	v_add_co_u32 v226, s0, v24, v6
	v_add_co_ci_u32_e64 v227, s0, v25, v7, s0
	s_clause 0x2a
	global_load_dwordx4 v[192:195], v[8:9], off
	global_load_dwordx4 v[24:27], v[10:11], off
	;; [unrolled: 1-line block ×43, first 2 shown]
.LBB0_13:
	s_or_b32 exec_lo, exec_lo, s6
	s_waitcnt vmcnt(43)
	v_add_f64 v[202:203], v[188:189], v[36:37]
	v_add_f64 v[188:189], v[36:37], -v[188:189]
	v_add_f64 v[36:37], v[186:187], v[34:35]
	v_add_f64 v[212:213], v[186:187], -v[34:35]
	s_waitcnt vmcnt(42)
	v_add_f64 v[34:35], v[192:193], v[28:29]
	v_add_f64 v[200:201], v[190:191], v[38:39]
	v_add_f64 v[38:39], v[38:39], -v[190:191]
	v_add_f64 v[214:215], v[184:185], v[32:33]
	v_add_f64 v[32:33], v[184:185], -v[32:33]
	;; [unrolled: 2-line block ×3, first 2 shown]
	v_add_f64 v[28:29], v[30:31], -v[194:195]
	s_waitcnt vmcnt(35)
	v_add_f64 v[30:31], v[180:181], v[176:177]
	v_add_f64 v[254:255], v[182:183], v[178:179]
	v_add_f64 v[176:177], v[176:177], -v[180:181]
	v_add_f64 v[192:193], v[178:179], -v[182:183]
	v_add_f64 v[178:179], v[174:175], v[170:171]
	v_add_f64 v[204:205], v[170:171], -v[174:175]
	v_add_f64 v[206:207], v[164:165], v[160:161]
	v_add_f64 v[170:171], v[166:167], v[162:163]
	v_add_f64 v[160:161], v[164:165], -v[160:161]
	v_add_f64 v[208:209], v[166:167], -v[162:163]
	s_waitcnt vmcnt(29)
	v_add_f64 v[210:211], v[156:157], v[152:153]
	v_add_f64 v[245:246], v[158:159], v[154:155]
	v_add_f64 v[250:251], v[152:153], -v[156:157]
	v_add_f64 v[216:217], v[154:155], -v[158:159]
	v_add_f64 v[224:225], v[148:149], v[144:145]
	v_add_f64 v[154:155], v[150:151], v[146:147]
	v_add_f64 v[222:223], v[150:151], -v[146:147]
	v_add_f64 v[146:147], v[148:149], -v[144:145]
	s_waitcnt vmcnt(28)
	v_add_f64 v[218:219], v[140:141], v[136:137]
	v_add_f64 v[144:145], v[142:143], v[138:139]
	v_add_f64 v[220:221], v[138:139], -v[142:143]
	v_add_f64 v[136:137], v[136:137], -v[140:141]
	s_waitcnt vmcnt(22)
	v_add_f64 v[226:227], v[132:133], v[128:129]
	v_add_f64 v[138:139], v[134:135], v[130:131]
	v_add_f64 v[128:129], v[128:129], -v[132:133]
	v_add_f64 v[228:229], v[130:131], -v[134:135]
	v_add_f64 v[232:233], v[124:125], v[120:121]
	v_add_f64 v[130:131], v[126:127], v[122:123]
	v_add_f64 v[124:125], v[124:125], -v[120:121]
	v_add_f64 v[234:235], v[126:127], -v[122:123]
	s_waitcnt vmcnt(21)
	v_add_f64 v[230:231], v[116:117], v[112:113]
	v_add_f64 v[120:121], v[118:119], v[114:115]
	v_add_f64 v[116:117], v[112:113], -v[116:117]
	v_add_f64 v[112:113], v[114:115], -v[118:119]
	s_waitcnt vmcnt(15)
	v_add_f64 v[236:237], v[108:109], v[104:105]
	v_add_f64 v[114:115], v[110:111], v[106:107]
	v_add_f64 v[118:119], v[104:105], -v[108:109]
	v_add_f64 v[104:105], v[106:107], -v[110:111]
	v_add_f64 v[106:107], v[100:101], v[96:97]
	v_add_f64 v[132:133], v[100:101], -v[96:97]
	s_waitcnt vmcnt(14)
	v_add_f64 v[96:97], v[92:93], v[88:89]
	v_add_f64 v[126:127], v[88:89], -v[92:93]
	s_waitcnt vmcnt(8)
	v_add_f64 v[88:89], v[84:85], v[80:81]
	v_add_f64 v[140:141], v[86:87], v[82:83]
	v_add_f64 v[142:143], v[80:81], -v[84:85]
	v_add_f64 v[80:81], v[82:83], -v[86:87]
	v_add_f64 v[82:83], v[76:77], v[72:73]
	v_add_f64 v[156:157], v[76:77], -v[72:73]
	s_waitcnt vmcnt(7)
	v_add_f64 v[72:73], v[68:69], v[64:65]
	v_add_f64 v[148:149], v[70:71], v[66:67]
	v_add_f64 v[150:151], v[64:65], -v[68:69]
	v_add_f64 v[64:65], v[66:67], -v[70:71]
	s_waitcnt vmcnt(1)
	v_add_f64 v[66:67], v[60:61], v[56:57]
	v_add_f64 v[164:165], v[62:63], v[58:59]
	v_add_f64 v[166:167], v[56:57], -v[60:61]
	v_add_f64 v[56:57], v[58:59], -v[62:63]
	v_add_f64 v[58:59], v[52:53], v[48:49]
	v_add_f64 v[180:181], v[52:53], -v[48:49]
	s_waitcnt vmcnt(0)
	v_add_f64 v[48:49], v[44:45], v[40:41]
	v_add_f64 v[174:175], v[40:41], -v[44:45]
	v_add_f64 v[40:41], v[202:203], v[34:35]
	v_add_f64 v[44:45], v[34:35], -v[214:215]
	v_add_f64 v[52:53], v[212:213], -v[38:39]
	s_mov_b32 s4, 0x37e14327
	s_mov_b32 s14, 0xe976ee23
	s_mov_b32 s5, 0x3fe948f6
	s_mov_b32 s15, 0xbfe11646
	v_add_f64 v[194:195], v[172:173], v[168:169]
	v_add_f64 v[168:169], v[168:169], -v[172:173]
	v_add_f64 v[182:183], v[54:55], v[50:51]
	v_add_f64 v[50:51], v[54:55], -v[50:51]
	;; [unrolled: 2-line block ×3, first 2 shown]
	v_add_f64 v[46:47], v[214:215], -v[202:203]
	v_add_f64 v[54:55], v[212:213], v[38:39]
	v_add_f64 v[60:61], v[28:29], -v[212:213]
	s_mov_b32 s16, 0x36b3c0b5
	s_mov_b32 s6, 0xaaaaaaaa
	s_mov_b32 s8, 0xb247c609
	s_mov_b32 s17, 0x3fac98ee
	s_mov_b32 s7, 0xbff2aaaa
	s_mov_b32 s9, 0x3fd5d0dc
	v_add_f64 v[40:41], v[214:215], v[40:41]
	v_mul_f64 v[44:45], v[44:45], s[4:5]
	v_mul_f64 v[52:53], v[52:53], s[14:15]
	s_mov_b32 s0, 0x37c3f68c
	s_mov_b32 s1, 0x3fdc38aa
	v_mad_u32_u24 v108, v238, 56, 0
	buffer_store_dword v243, off, s[36:39], 0 offset:56 ; 4-byte Folded Spill
	buffer_store_dword v239, off, s[36:39], 0 offset:572 ; 4-byte Folded Spill
	s_mov_b32 s18, 0x429ad128
	s_mov_b32 s19, 0x3febfeb5
	;; [unrolled: 1-line block ×7, first 2 shown]
	v_add_f64 v[54:55], v[54:55], v[28:29]
	s_mov_b32 s24, s20
	v_mad_i32_i24 v109, v239, 56, 0
	v_add_f64 v[134:135], v[102:103], v[98:99]
	v_add_f64 v[98:99], v[102:103], -v[98:99]
	v_add_f64 v[122:123], v[94:95], v[90:91]
	v_add_f64 v[90:91], v[90:91], -v[94:95]
	v_add_f64 v[158:159], v[78:79], v[74:75]
	v_add_f64 v[0:1], v[0:1], v[40:41]
	v_fma_f64 v[68:69], v[46:47], s[16:17], v[44:45]
	v_fma_f64 v[62:63], v[60:61], s[8:9], v[52:53]
	v_add_f64 v[74:75], v[78:79], -v[74:75]
	s_load_dwordx2 s[26:27], s[26:27], 0x0
	v_fma_f64 v[40:41], v[40:41], s[6:7], v[0:1]
	v_fma_f64 v[62:63], v[54:55], s[0:1], v[62:63]
	v_add_f64 v[68:69], v[68:69], v[40:41]
	v_add_f64 v[70:71], v[62:63], v[68:69]
	ds_write2_b64 v108, v[0:1], v[70:71] offset1:1
	v_add_f64 v[0:1], v[38:39], -v[28:29]
	v_add_f64 v[28:29], v[202:203], -v[34:35]
	v_mul_f64 v[38:39], v[46:47], s[16:17]
	v_fma_f64 v[34:35], v[0:1], s[18:19], -v[52:53]
	v_mul_f64 v[0:1], v[0:1], s[18:19]
	v_fma_f64 v[44:45], v[28:29], s[24:25], -v[44:45]
	v_fma_f64 v[28:29], v[28:29], s[20:21], -v[38:39]
	v_fma_f64 v[34:35], v[54:55], s[0:1], v[34:35]
	v_fma_f64 v[0:1], v[60:61], s[22:23], -v[0:1]
	v_add_f64 v[38:39], v[44:45], v[40:41]
	v_add_f64 v[28:29], v[28:29], v[40:41]
	v_fma_f64 v[0:1], v[54:55], s[0:1], v[0:1]
	v_add_f64 v[44:45], v[28:29], -v[34:35]
	v_add_f64 v[28:29], v[34:35], v[28:29]
	v_add_f64 v[34:35], v[206:207], -v[194:195]
	v_add_f64 v[40:41], v[0:1], v[38:39]
	;; [unrolled: 2-line block ×3, first 2 shown]
	ds_write2_b64 v108, v[40:41], v[44:45] offset0:2 offset1:3
	ds_write2_b64 v108, v[28:29], v[0:1] offset0:4 offset1:5
	v_add_f64 v[0:1], v[68:69], -v[62:63]
	v_add_f64 v[28:29], v[30:31], -v[206:207]
	v_add_f64 v[40:41], v[208:209], -v[204:205]
	v_add_f64 v[44:45], v[192:193], -v[208:209]
	v_add_f64 v[38:39], v[38:39], v[192:193]
	ds_write_b64 v108, v[0:1] offset:48
	v_add_f64 v[0:1], v[194:195], v[30:31]
	v_mul_f64 v[28:29], v[28:29], s[4:5]
	v_mul_f64 v[40:41], v[40:41], s[14:15]
	v_add_f64 v[0:1], v[206:207], v[0:1]
	v_fma_f64 v[46:47], v[34:35], s[16:17], v[28:29]
	v_fma_f64 v[52:53], v[44:45], s[8:9], v[40:41]
	v_mul_f64 v[34:35], v[34:35], s[16:17]
	v_add_f64 v[24:25], v[24:25], v[0:1]
	v_fma_f64 v[52:53], v[38:39], s[0:1], v[52:53]
	v_fma_f64 v[0:1], v[0:1], s[6:7], v[24:25]
	v_add_f64 v[46:47], v[46:47], v[0:1]
	v_add_f64 v[54:55], v[52:53], v[46:47]
	ds_write2_b64 v109, v[24:25], v[54:55] offset1:1
	v_add_f64 v[24:25], v[194:195], -v[30:31]
	v_add_f64 v[30:31], v[204:205], -v[192:193]
	v_mad_i32_i24 v192, v241, 56, 0
	v_mad_i32_i24 v193, v242, 56, 0
	;; [unrolled: 1-line block ×3, first 2 shown]
	v_add_f64 v[205:206], v[186:187], -v[32:33]
	v_fma_f64 v[34:35], v[24:25], s[20:21], -v[34:35]
	v_fma_f64 v[24:25], v[24:25], s[24:25], -v[28:29]
	v_mul_f64 v[28:29], v[30:31], s[18:19]
	v_fma_f64 v[30:31], v[30:31], s[18:19], -v[40:41]
	v_add_f64 v[34:35], v[34:35], v[0:1]
	v_add_f64 v[0:1], v[24:25], v[0:1]
	v_fma_f64 v[28:29], v[44:45], s[22:23], -v[28:29]
	v_fma_f64 v[24:25], v[38:39], s[0:1], v[28:29]
	v_fma_f64 v[28:29], v[38:39], s[0:1], v[30:31]
	v_add_f64 v[30:31], v[24:25], v[0:1]
	v_add_f64 v[38:39], v[34:35], -v[28:29]
	v_add_f64 v[28:29], v[28:29], v[34:35]
	v_add_f64 v[0:1], v[0:1], -v[24:25]
	v_add_f64 v[24:25], v[218:219], -v[224:225]
	v_add_f64 v[34:35], v[222:223], v[216:217]
	ds_write2_b64 v109, v[30:31], v[38:39] offset0:2 offset1:3
	v_add_f64 v[30:31], v[222:223], -v[216:217]
	ds_write2_b64 v109, v[28:29], v[0:1] offset0:4 offset1:5
	v_add_f64 v[0:1], v[46:47], -v[52:53]
	v_add_f64 v[28:29], v[224:225], -v[210:211]
	v_mul_f64 v[24:25], v[24:25], s[4:5]
	v_add_f64 v[38:39], v[220:221], -v[222:223]
	v_add_f64 v[34:35], v[34:35], v[220:221]
	v_mul_f64 v[30:31], v[30:31], s[14:15]
	ds_write_b64 v109, v[0:1] offset:48
	v_add_f64 v[0:1], v[210:211], v[218:219]
	v_fma_f64 v[40:41], v[28:29], s[16:17], v[24:25]
	v_mul_f64 v[28:29], v[28:29], s[16:17]
	v_fma_f64 v[44:45], v[38:39], s[8:9], v[30:31]
	v_add_f64 v[0:1], v[224:225], v[0:1]
	v_fma_f64 v[44:45], v[34:35], s[0:1], v[44:45]
	v_add_f64 v[20:21], v[20:21], v[0:1]
	;; [unrolled: 2-line block ×3, first 2 shown]
	v_add_f64 v[46:47], v[44:45], v[40:41]
	ds_write2_b64 v192, v[20:21], v[46:47] offset1:1
	v_add_f64 v[20:21], v[216:217], -v[220:221]
	v_add_f64 v[46:47], v[210:211], -v[218:219]
	v_add_f64 v[209:210], v[36:37], -v[200:201]
	v_fma_f64 v[28:29], v[46:47], s[20:21], -v[28:29]
	v_fma_f64 v[24:25], v[46:47], s[24:25], -v[24:25]
	v_mul_f64 v[46:47], v[20:21], s[18:19]
	v_fma_f64 v[20:21], v[20:21], s[18:19], -v[30:31]
	v_add_f64 v[28:29], v[28:29], v[0:1]
	v_add_f64 v[0:1], v[24:25], v[0:1]
	v_fma_f64 v[38:39], v[38:39], s[22:23], -v[46:47]
	v_fma_f64 v[20:21], v[34:35], s[0:1], v[20:21]
	v_fma_f64 v[24:25], v[34:35], s[0:1], v[38:39]
	v_add_f64 v[34:35], v[28:29], -v[20:21]
	v_add_f64 v[20:21], v[20:21], v[28:29]
	v_add_f64 v[28:29], v[234:235], -v[228:229]
	v_add_f64 v[30:31], v[24:25], v[0:1]
	v_add_f64 v[0:1], v[0:1], -v[24:25]
	v_add_f64 v[24:25], v[232:233], -v[226:227]
	v_mul_f64 v[28:29], v[28:29], s[14:15]
	ds_write2_b64 v192, v[30:31], v[34:35] offset0:2 offset1:3
	ds_write2_b64 v192, v[20:21], v[0:1] offset0:4 offset1:5
	v_add_f64 v[0:1], v[40:41], -v[44:45]
	v_add_f64 v[20:21], v[230:231], -v[232:233]
	v_add_f64 v[30:31], v[234:235], v[228:229]
	v_add_f64 v[34:35], v[112:113], -v[234:235]
	ds_write_b64 v192, v[0:1] offset:48
	v_add_f64 v[0:1], v[226:227], v[230:231]
	v_mul_f64 v[20:21], v[20:21], s[4:5]
	v_add_f64 v[30:31], v[30:31], v[112:113]
	v_fma_f64 v[40:41], v[34:35], s[8:9], v[28:29]
	v_add_f64 v[0:1], v[232:233], v[0:1]
	v_fma_f64 v[38:39], v[24:25], s[16:17], v[20:21]
	v_mul_f64 v[24:25], v[24:25], s[16:17]
	v_fma_f64 v[40:41], v[30:31], s[0:1], v[40:41]
	v_add_f64 v[16:17], v[16:17], v[0:1]
	v_fma_f64 v[0:1], v[0:1], s[6:7], v[16:17]
	v_add_f64 v[38:39], v[38:39], v[0:1]
	v_add_f64 v[44:45], v[40:41], v[38:39]
	ds_write2_b64 v193, v[16:17], v[44:45] offset1:1
	v_add_f64 v[16:17], v[226:227], -v[230:231]
	v_add_f64 v[44:45], v[228:229], -v[112:113]
	v_fma_f64 v[24:25], v[16:17], s[20:21], -v[24:25]
	v_fma_f64 v[16:17], v[16:17], s[24:25], -v[20:21]
	v_mul_f64 v[20:21], v[44:45], s[18:19]
	v_fma_f64 v[28:29], v[44:45], s[18:19], -v[28:29]
	v_add_f64 v[24:25], v[24:25], v[0:1]
	v_add_f64 v[0:1], v[16:17], v[0:1]
	v_fma_f64 v[20:21], v[34:35], s[22:23], -v[20:21]
	v_fma_f64 v[16:17], v[30:31], s[0:1], v[20:21]
	v_fma_f64 v[20:21], v[30:31], s[0:1], v[28:29]
	v_add_f64 v[28:29], v[16:17], v[0:1]
	v_add_f64 v[30:31], v[24:25], -v[20:21]
	v_add_f64 v[20:21], v[20:21], v[24:25]
	v_add_f64 v[0:1], v[0:1], -v[16:17]
	v_add_f64 v[16:17], v[96:97], -v[106:107]
	;; [unrolled: 1-line block ×3, first 2 shown]
	ds_write2_b64 v193, v[28:29], v[30:31] offset0:2 offset1:3
	v_add_f64 v[28:29], v[98:99], v[104:105]
	ds_write2_b64 v193, v[20:21], v[0:1] offset0:4 offset1:5
	v_add_f64 v[0:1], v[38:39], -v[40:41]
	v_add_f64 v[20:21], v[106:107], -v[236:237]
	v_mul_f64 v[16:17], v[16:17], s[4:5]
	v_add_f64 v[30:31], v[90:91], -v[98:99]
	v_mul_f64 v[24:25], v[24:25], s[14:15]
	v_add_f64 v[28:29], v[28:29], v[90:91]
	ds_write_b64 v193, v[0:1] offset:48
	v_add_f64 v[0:1], v[236:237], v[96:97]
	v_add_f64 v[0:1], v[106:107], v[0:1]
	;; [unrolled: 1-line block ×3, first 2 shown]
	v_fma_f64 v[12:13], v[20:21], s[16:17], v[16:17]
	v_mul_f64 v[20:21], v[20:21], s[16:17]
	v_fma_f64 v[0:1], v[0:1], s[6:7], v[34:35]
	v_add_f64 v[38:39], v[12:13], v[0:1]
	v_fma_f64 v[12:13], v[30:31], s[8:9], v[24:25]
	v_fma_f64 v[40:41], v[28:29], s[0:1], v[12:13]
	v_mad_i32_i24 v12, v243, 56, 0
	v_lshl_add_u32 v13, v241, 3, 0
	v_mov_b32_e32 v152, v13
	v_add_f64 v[44:45], v[40:41], v[38:39]
	ds_write2_b64 v12, v[34:35], v[44:45] offset1:1
	v_add_f64 v[34:35], v[104:105], -v[90:91]
	v_add_f64 v[44:45], v[236:237], -v[96:97]
	v_fma_f64 v[24:25], v[34:35], s[18:19], -v[24:25]
	v_fma_f64 v[16:17], v[44:45], s[24:25], -v[16:17]
	;; [unrolled: 1-line block ×3, first 2 shown]
	v_mul_f64 v[44:45], v[34:35], s[18:19]
	v_fma_f64 v[24:25], v[28:29], s[0:1], v[24:25]
	v_add_f64 v[16:17], v[16:17], v[0:1]
	v_add_f64 v[0:1], v[20:21], v[0:1]
	v_fma_f64 v[30:31], v[30:31], s[22:23], -v[44:45]
	v_fma_f64 v[20:21], v[28:29], s[0:1], v[30:31]
	v_add_f64 v[30:31], v[0:1], -v[24:25]
	v_add_f64 v[0:1], v[24:25], v[0:1]
	v_add_f64 v[24:25], v[74:75], v[80:81]
	;; [unrolled: 1-line block ×3, first 2 shown]
	v_add_f64 v[16:17], v[16:17], -v[20:21]
	v_add_f64 v[20:21], v[82:83], -v[88:89]
	v_add_f64 v[24:25], v[24:25], v[64:65]
	ds_write2_b64 v12, v[28:29], v[30:31] offset0:2 offset1:3
	ds_write2_b64 v12, v[0:1], v[16:17] offset0:4 offset1:5
	v_add_f64 v[0:1], v[38:39], -v[40:41]
	v_add_f64 v[16:17], v[72:73], -v[82:83]
	v_add_f64 v[28:29], v[74:75], -v[80:81]
	v_add_f64 v[30:31], v[64:65], -v[74:75]
	ds_write_b64 v12, v[0:1] offset:48
	v_add_f64 v[0:1], v[88:89], v[72:73]
	v_mul_f64 v[16:17], v[16:17], s[4:5]
	v_mul_f64 v[28:29], v[28:29], s[14:15]
	v_add_f64 v[0:1], v[82:83], v[0:1]
	v_add_f64 v[34:35], v[8:9], v[0:1]
	v_fma_f64 v[8:9], v[20:21], s[16:17], v[16:17]
	v_mul_f64 v[20:21], v[20:21], s[16:17]
	v_fma_f64 v[0:1], v[0:1], s[6:7], v[34:35]
	v_add_f64 v[38:39], v[8:9], v[0:1]
	v_fma_f64 v[8:9], v[30:31], s[8:9], v[28:29]
	v_fma_f64 v[40:41], v[24:25], s[0:1], v[8:9]
	v_mad_i32_i24 v8, v244, 56, 0
	v_add_f64 v[44:45], v[40:41], v[38:39]
	ds_write2_b64 v8, v[34:35], v[44:45] offset1:1
	v_add_f64 v[34:35], v[88:89], -v[72:73]
	v_add_f64 v[44:45], v[80:81], -v[64:65]
	v_fma_f64 v[20:21], v[34:35], s[20:21], -v[20:21]
	v_fma_f64 v[16:17], v[34:35], s[24:25], -v[16:17]
	v_mul_f64 v[34:35], v[44:45], s[18:19]
	v_fma_f64 v[28:29], v[44:45], s[18:19], -v[28:29]
	v_add_f64 v[20:21], v[20:21], v[0:1]
	v_add_f64 v[0:1], v[16:17], v[0:1]
	v_fma_f64 v[30:31], v[30:31], s[22:23], -v[34:35]
	v_fma_f64 v[16:17], v[24:25], s[0:1], v[30:31]
	v_fma_f64 v[24:25], v[24:25], s[0:1], v[28:29]
	v_add_f64 v[28:29], v[16:17], v[0:1]
	v_add_f64 v[30:31], v[20:21], -v[24:25]
	v_add_f64 v[20:21], v[24:25], v[20:21]
	v_add_f64 v[0:1], v[0:1], -v[16:17]
	v_add_f64 v[16:17], v[48:49], -v[58:59]
	;; [unrolled: 1-line block ×3, first 2 shown]
	ds_write2_b64 v8, v[28:29], v[30:31] offset0:2 offset1:3
	v_add_f64 v[28:29], v[50:51], v[56:57]
	ds_write2_b64 v8, v[20:21], v[0:1] offset0:4 offset1:5
	v_add_f64 v[0:1], v[38:39], -v[40:41]
	v_add_f64 v[20:21], v[58:59], -v[66:67]
	v_mul_f64 v[16:17], v[16:17], s[4:5]
	v_add_f64 v[30:31], v[42:43], -v[50:51]
	v_mul_f64 v[24:25], v[24:25], s[14:15]
	v_add_f64 v[28:29], v[28:29], v[42:43]
	ds_write_b64 v8, v[0:1] offset:48
	v_add_f64 v[0:1], v[66:67], v[48:49]
	v_fma_f64 v[34:35], v[20:21], s[16:17], v[16:17]
	v_mul_f64 v[20:21], v[20:21], s[16:17]
	v_fma_f64 v[38:39], v[30:31], s[8:9], v[24:25]
	v_add_f64 v[0:1], v[58:59], v[0:1]
	v_fma_f64 v[38:39], v[28:29], s[0:1], v[38:39]
	v_add_f64 v[4:5], v[4:5], v[0:1]
	;; [unrolled: 2-line block ×3, first 2 shown]
	v_add_f64 v[40:41], v[38:39], v[34:35]
	ds_write2_b64 v194, v[4:5], v[40:41] offset1:1
	v_add_f64 v[4:5], v[56:57], -v[42:43]
	v_add_f64 v[40:41], v[66:67], -v[48:49]
	v_fma_f64 v[20:21], v[40:41], s[20:21], -v[20:21]
	v_fma_f64 v[16:17], v[40:41], s[24:25], -v[16:17]
	v_mul_f64 v[40:41], v[4:5], s[18:19]
	v_fma_f64 v[4:5], v[4:5], s[18:19], -v[24:25]
	v_add_f64 v[20:21], v[20:21], v[0:1]
	v_add_f64 v[0:1], v[16:17], v[0:1]
	v_fma_f64 v[30:31], v[30:31], s[22:23], -v[40:41]
	v_fma_f64 v[4:5], v[28:29], s[0:1], v[4:5]
	v_fma_f64 v[16:17], v[28:29], s[0:1], v[30:31]
	v_add_f64 v[28:29], v[20:21], -v[4:5]
	v_add_f64 v[4:5], v[4:5], v[20:21]
	v_lshl_add_u32 v20, v243, 3, 0
	v_lshl_add_u32 v21, v244, 3, 0
	v_add_f64 v[24:25], v[16:17], v[0:1]
	v_add_f64 v[0:1], v[0:1], -v[16:17]
	v_lshl_add_u32 v16, v242, 3, 0
	ds_write2_b64 v194, v[24:25], v[28:29] offset0:2 offset1:3
	ds_write2_b64 v194, v[4:5], v[0:1] offset0:4 offset1:5
	v_add_f64 v[0:1], v[34:35], -v[38:39]
	v_add_f64 v[4:5], v[200:201], v[184:185]
	v_mad_i32_i24 v28, 0xffffffd0, v240, v194
	ds_write_b64 v194, v[0:1] offset:48
	v_add_f64 v[4:5], v[36:37], v[4:5]
	v_add_f64 v[0:1], v[32:33], -v[188:189]
	s_waitcnt lgkmcnt(0)
	s_waitcnt_vscnt null, 0x0
	s_barrier
	buffer_gl0_inv
	buffer_store_dword v20, off, s[36:39], 0 offset:4 ; 4-byte Folded Spill
	buffer_store_dword v28, off, s[36:39], 0 offset:12 ; 4-byte Folded Spill
	v_add_f64 v[202:203], v[2:3], v[4:5]
	v_add_f64 v[2:3], v[32:33], v[188:189]
	v_mul_f64 v[207:208], v[0:1], s[14:15]
	v_add_f64 v[0:1], v[184:185], -v[36:37]
	v_add_f64 v[184:185], v[200:201], -v[184:185]
	v_mul_f64 v[200:201], v[209:210], s[16:17]
	v_fma_f64 v[4:5], v[4:5], s[6:7], v[202:203]
	v_add_f64 v[213:214], v[2:3], v[186:187]
	v_lshl_add_u32 v2, v239, 3, 0
	v_mul_f64 v[211:212], v[0:1], s[4:5]
	v_fma_f64 v[0:1], v[205:206], s[8:9], v[207:208]
	v_add_f64 v[186:187], v[188:189], -v[186:187]
	ds_read_b64 v[24:25], v2
	buffer_store_dword v2, off, s[36:39], 0 ; 4-byte Folded Spill
	v_fma_f64 v[215:216], v[213:214], s[0:1], v[0:1]
	v_fma_f64 v[0:1], v[209:210], s[16:17], v[211:212]
	v_fma_f64 v[188:189], v[186:187], s[18:19], -v[207:208]
	v_mul_f64 v[186:187], v[186:187], s[18:19]
	v_add_f64 v[217:218], v[0:1], v[4:5]
	v_lshl_add_u32 v1, v238, 3, 0
	v_fma_f64 v[186:187], v[205:206], s[22:23], -v[186:187]
	v_fma_f64 v[188:189], v[213:214], s[0:1], v[188:189]
	v_mov_b32_e32 v9, v1
	v_add_nc_u32_e32 v30, 0x2800, v1
	v_add_nc_u32_e32 v223, 0x800, v1
	;; [unrolled: 1-line block ×4, first 2 shown]
	ds_read_b64 v[112:113], v9
	s_waitcnt lgkmcnt(1)
	buffer_store_dword v24, off, s[36:39], 0 offset:116 ; 4-byte Folded Spill
	buffer_store_dword v25, off, s[36:39], 0 offset:120 ; 4-byte Folded Spill
	ds_read_b64 v[24:25], v13
	s_waitcnt lgkmcnt(0)
	buffer_store_dword v24, off, s[36:39], 0 offset:108 ; 4-byte Folded Spill
	buffer_store_dword v25, off, s[36:39], 0 offset:112 ; 4-byte Folded Spill
	ds_read_b64 v[31:32], v16
	v_mov_b32_e32 v17, v9
	s_waitcnt lgkmcnt(0)
	buffer_store_dword v31, off, s[36:39], 0 offset:92 ; 4-byte Folded Spill
	buffer_store_dword v32, off, s[36:39], 0 offset:96 ; 4-byte Folded Spill
	v_add_nc_u32_e32 v153, 0x4400, v17
	ds_read_b64 v[16:17], v20
	s_waitcnt lgkmcnt(0)
	buffer_store_dword v16, off, s[36:39], 0 offset:124 ; 4-byte Folded Spill
	buffer_store_dword v17, off, s[36:39], 0 offset:128 ; 4-byte Folded Spill
	ds_read_b64 v[16:17], v21
	s_waitcnt lgkmcnt(0)
	buffer_store_dword v16, off, s[36:39], 0 offset:100 ; 4-byte Folded Spill
	buffer_store_dword v17, off, s[36:39], 0 offset:104 ; 4-byte Folded Spill
	v_add_f64 v[219:220], v[217:218], -v[215:216]
	ds_read_b64 v[31:32], v28
	v_add_nc_u32_e32 v37, 0x3000, v1
	v_add_nc_u32_e32 v204, 0x3c00, v1
	;; [unrolled: 1-line block ×7, first 2 shown]
	v_mov_b32_e32 v2, v30
	s_waitcnt lgkmcnt(0)
	buffer_store_dword v31, off, s[36:39], 0 offset:84 ; 4-byte Folded Spill
	buffer_store_dword v32, off, s[36:39], 0 offset:88 ; 4-byte Folded Spill
	ds_read2_b64 v[104:107], v223 offset0:87 offset1:136
	ds_read2_b64 v[40:43], v222 offset0:125 offset1:174
	;; [unrolled: 1-line block ×4, first 2 shown]
	v_mov_b32_e32 v13, v37
	ds_read2_b64 v[96:99], v37 offset0:179 offset1:228
	ds_read2_b64 v[28:31], v204 offset0:89 offset1:138
	;; [unrolled: 1-line block ×3, first 2 shown]
	v_mov_b32_e32 v248, v1
	ds_read2_b64 v[88:91], v2 offset0:141 offset1:190
	v_mov_b32_e32 v253, v2
	ds_read2_b64 v[84:87], v231 offset0:59 offset1:108
	ds_read2_b64 v[80:83], v223 offset0:185 offset1:234
	;; [unrolled: 1-line block ×6, first 2 shown]
	v_mov_b32_e32 v20, v3
	ds_read2_b64 v[60:63], v231 offset0:157 offset1:206
	ds_read2_b64 v[56:59], v222 offset0:27 offset1:76
	;; [unrolled: 1-line block ×4, first 2 shown]
	v_mov_b32_e32 v17, v38
	ds_read2_b64 v[44:47], v36 offset0:163 offset1:212
	v_mov_b32_e32 v16, v36
	ds_read2_b64 v[36:39], v37 offset0:81 offset1:130
	ds_read2_b64 v[0:3], v153 offset0:127 offset1:176
	s_waitcnt lgkmcnt(0)
	s_waitcnt_vscnt null, 0x0
	s_barrier
	buffer_gl0_inv
	ds_write2_b64 v108, v[202:203], v[219:220] offset1:1
	v_fma_f64 v[202:203], v[184:185], s[24:25], -v[211:212]
	v_fma_f64 v[184:185], v[184:185], s[20:21], -v[200:201]
	v_fma_f64 v[186:187], v[213:214], s[0:1], v[186:187]
	v_mov_b32_e32 v163, v13
	v_mov_b32_e32 v221, v9
	buffer_store_dword v194, off, s[36:39], 0 offset:568 ; 4-byte Folded Spill
	v_mov_b32_e32 v220, v248
	v_mov_b32_e32 v209, v17
	v_add_f64 v[200:201], v[202:203], v[4:5]
	v_add_f64 v[4:5], v[184:185], v[4:5]
	v_add_f64 v[184:185], v[200:201], -v[186:187]
	v_add_f64 v[202:203], v[188:189], v[4:5]
	v_add_f64 v[4:5], v[4:5], -v[188:189]
	v_add_f64 v[188:189], v[160:161], -v[168:169]
	ds_write2_b64 v108, v[184:185], v[202:203] offset0:2 offset1:3
	v_add_f64 v[184:185], v[186:187], v[200:201]
	v_add_f64 v[186:187], v[160:161], v[168:169]
	v_add_f64 v[160:161], v[176:177], -v[160:161]
	v_mul_f64 v[188:189], v[188:189], s[14:15]
	v_add_f64 v[168:169], v[168:169], -v[176:177]
	ds_write2_b64 v108, v[4:5], v[184:185] offset0:4 offset1:5
	v_add_f64 v[4:5], v[215:216], v[217:218]
	v_add_f64 v[184:185], v[254:255], -v[170:171]
	v_add_f64 v[186:187], v[186:187], v[176:177]
	v_fma_f64 v[202:203], v[160:161], s[8:9], v[188:189]
	v_mul_f64 v[176:177], v[168:169], s[18:19]
	v_fma_f64 v[168:169], v[168:169], s[18:19], -v[188:189]
	v_mov_b32_e32 v216, v20
	v_mov_b32_e32 v217, v209
	ds_write_b64 v108, v[4:5] offset:48
	v_add_f64 v[4:5], v[178:179], v[254:255]
	v_mul_f64 v[184:185], v[184:185], s[4:5]
	v_fma_f64 v[202:203], v[186:187], s[0:1], v[202:203]
	v_fma_f64 v[160:161], v[160:161], s[22:23], -v[176:177]
	v_add_f64 v[4:5], v[170:171], v[4:5]
	v_add_f64 v[170:171], v[170:171], -v[178:179]
	v_add_f64 v[26:27], v[26:27], v[4:5]
	v_fma_f64 v[200:201], v[170:171], s[16:17], v[184:185]
	v_mul_f64 v[170:171], v[170:171], s[16:17]
	v_fma_f64 v[4:5], v[4:5], s[6:7], v[26:27]
	v_add_f64 v[200:201], v[200:201], v[4:5]
	v_add_f64 v[205:206], v[200:201], -v[202:203]
	ds_write2_b64 v109, v[26:27], v[205:206] offset1:1
	v_add_f64 v[26:27], v[178:179], -v[254:255]
	v_fma_f64 v[170:171], v[26:27], s[20:21], -v[170:171]
	v_fma_f64 v[26:27], v[26:27], s[24:25], -v[184:185]
	v_add_f64 v[170:171], v[170:171], v[4:5]
	v_add_f64 v[4:5], v[26:27], v[4:5]
	v_fma_f64 v[26:27], v[186:187], s[0:1], v[160:161]
	v_fma_f64 v[160:161], v[186:187], s[0:1], v[168:169]
	v_add_f64 v[168:169], v[4:5], -v[26:27]
	v_add_f64 v[176:177], v[160:161], v[170:171]
	v_add_f64 v[160:161], v[170:171], -v[160:161]
	v_add_f64 v[4:5], v[26:27], v[4:5]
	v_add_f64 v[26:27], v[144:145], -v[154:155]
	ds_write2_b64 v109, v[168:169], v[176:177] offset0:2 offset1:3
	ds_write2_b64 v109, v[160:161], v[4:5] offset0:4 offset1:5
	v_add_f64 v[4:5], v[202:203], v[200:201]
	v_mul_f64 v[26:27], v[26:27], s[4:5]
	v_add_f64 v[160:161], v[146:147], v[250:251]
	ds_write_b64 v109, v[4:5] offset:48
	v_add_f64 v[4:5], v[245:246], v[144:145]
	v_add_f64 v[108:109], v[154:155], -v[245:246]
	v_add_f64 v[160:161], v[160:161], v[136:137]
	v_add_f64 v[4:5], v[154:155], v[4:5]
	v_add_f64 v[154:155], v[146:147], -v[250:251]
	v_add_f64 v[146:147], v[136:137], -v[146:147]
	v_fma_f64 v[168:169], v[108:109], s[16:17], v[26:27]
	v_mul_f64 v[108:109], v[108:109], s[16:17]
	v_add_f64 v[22:23], v[22:23], v[4:5]
	v_mul_f64 v[154:155], v[154:155], s[14:15]
	v_fma_f64 v[4:5], v[4:5], s[6:7], v[22:23]
	v_fma_f64 v[170:171], v[146:147], s[8:9], v[154:155]
	v_add_f64 v[168:169], v[168:169], v[4:5]
	v_fma_f64 v[170:171], v[160:161], s[0:1], v[170:171]
	v_add_f64 v[176:177], v[168:169], -v[170:171]
	ds_write2_b64 v192, v[22:23], v[176:177] offset1:1
	v_add_f64 v[22:23], v[250:251], -v[136:137]
	v_add_f64 v[136:137], v[245:246], -v[144:145]
	v_mov_b32_e32 v176, 6
	v_fma_f64 v[108:109], v[136:137], s[20:21], -v[108:109]
	v_fma_f64 v[26:27], v[136:137], s[24:25], -v[26:27]
	v_mul_f64 v[136:137], v[22:23], s[18:19]
	v_fma_f64 v[22:23], v[22:23], s[18:19], -v[154:155]
	v_add_f64 v[108:109], v[108:109], v[4:5]
	v_add_f64 v[4:5], v[26:27], v[4:5]
	v_fma_f64 v[136:137], v[146:147], s[22:23], -v[136:137]
	v_fma_f64 v[22:23], v[160:161], s[0:1], v[22:23]
	v_fma_f64 v[26:27], v[160:161], s[0:1], v[136:137]
	v_add_f64 v[144:145], v[22:23], v[108:109]
	v_add_f64 v[22:23], v[108:109], -v[22:23]
	v_add_f64 v[108:109], v[124:125], -v[128:129]
	v_add_f64 v[136:137], v[4:5], -v[26:27]
	v_add_f64 v[4:5], v[26:27], v[4:5]
	v_add_f64 v[26:27], v[130:131], -v[138:139]
	v_mul_f64 v[108:109], v[108:109], s[14:15]
	ds_write2_b64 v192, v[136:137], v[144:145] offset0:2 offset1:3
	ds_write2_b64 v192, v[22:23], v[4:5] offset0:4 offset1:5
	v_add_f64 v[4:5], v[170:171], v[168:169]
	v_add_f64 v[22:23], v[120:121], -v[130:131]
	ds_write_b64 v192, v[4:5] offset:48
	v_add_f64 v[4:5], v[138:139], v[120:121]
	v_mul_f64 v[22:23], v[22:23], s[4:5]
	v_add_f64 v[4:5], v[130:131], v[4:5]
	v_add_f64 v[130:131], v[124:125], v[128:129]
	v_add_f64 v[124:125], v[116:117], -v[124:125]
	v_fma_f64 v[136:137], v[26:27], s[16:17], v[22:23]
	v_mul_f64 v[26:27], v[26:27], s[16:17]
	v_add_f64 v[18:19], v[18:19], v[4:5]
	v_add_f64 v[130:131], v[130:131], v[116:117]
	v_fma_f64 v[144:145], v[124:125], s[8:9], v[108:109]
	v_add_f64 v[116:117], v[128:129], -v[116:117]
	v_fma_f64 v[4:5], v[4:5], s[6:7], v[18:19]
	v_fma_f64 v[144:145], v[130:131], s[0:1], v[144:145]
	v_fma_f64 v[108:109], v[116:117], s[18:19], -v[108:109]
	v_add_f64 v[136:137], v[136:137], v[4:5]
	v_add_f64 v[146:147], v[136:137], -v[144:145]
	ds_write2_b64 v193, v[18:19], v[146:147] offset1:1
	v_add_f64 v[18:19], v[138:139], -v[120:121]
	v_fma_f64 v[26:27], v[18:19], s[20:21], -v[26:27]
	v_fma_f64 v[18:19], v[18:19], s[24:25], -v[22:23]
	v_mul_f64 v[22:23], v[116:117], s[18:19]
	v_add_f64 v[26:27], v[26:27], v[4:5]
	v_add_f64 v[4:5], v[18:19], v[4:5]
	v_fma_f64 v[22:23], v[124:125], s[22:23], -v[22:23]
	v_fma_f64 v[18:19], v[130:131], s[0:1], v[22:23]
	v_fma_f64 v[22:23], v[130:131], s[0:1], v[108:109]
	v_add_f64 v[108:109], v[4:5], -v[18:19]
	v_add_f64 v[116:117], v[22:23], v[26:27]
	v_add_f64 v[22:23], v[26:27], -v[22:23]
	v_add_f64 v[4:5], v[18:19], v[4:5]
	v_add_f64 v[18:19], v[122:123], -v[134:135]
	v_add_f64 v[26:27], v[132:133], -v[118:119]
	ds_write2_b64 v193, v[108:109], v[116:117] offset0:2 offset1:3
	v_add_f64 v[108:109], v[132:133], v[118:119]
	ds_write2_b64 v193, v[22:23], v[4:5] offset0:4 offset1:5
	v_add_f64 v[4:5], v[144:145], v[136:137]
	v_add_f64 v[22:23], v[134:135], -v[114:115]
	v_mul_f64 v[18:19], v[18:19], s[4:5]
	v_add_f64 v[116:117], v[126:127], -v[132:133]
	v_mul_f64 v[26:27], v[26:27], s[14:15]
	v_add_f64 v[108:109], v[108:109], v[126:127]
	ds_write_b64 v193, v[4:5] offset:48
	v_add_f64 v[4:5], v[114:115], v[122:123]
	v_fma_f64 v[120:121], v[22:23], s[16:17], v[18:19]
	v_add_f64 v[114:115], v[114:115], -v[122:123]
	v_fma_f64 v[124:125], v[116:117], s[8:9], v[26:27]
	v_mul_f64 v[22:23], v[22:23], s[16:17]
	v_add_f64 v[4:5], v[134:135], v[4:5]
	v_fma_f64 v[18:19], v[114:115], s[24:25], -v[18:19]
	v_fma_f64 v[124:125], v[108:109], s[0:1], v[124:125]
	v_fma_f64 v[22:23], v[114:115], s[20:21], -v[22:23]
	v_add_f64 v[13:14], v[14:15], v[4:5]
	v_fma_f64 v[4:5], v[4:5], s[6:7], v[13:14]
	v_add_f64 v[120:121], v[120:121], v[4:5]
	v_add_f64 v[18:19], v[18:19], v[4:5]
	;; [unrolled: 1-line block ×3, first 2 shown]
	v_add_f64 v[128:129], v[120:121], -v[124:125]
	ds_write2_b64 v12, v[13:14], v[128:129] offset1:1
	v_add_f64 v[13:14], v[118:119], -v[126:127]
	v_mul_f64 v[114:115], v[13:14], s[18:19]
	v_fma_f64 v[13:14], v[13:14], s[18:19], -v[26:27]
	v_fma_f64 v[114:115], v[116:117], s[22:23], -v[114:115]
	v_fma_f64 v[13:14], v[108:109], s[0:1], v[13:14]
	v_fma_f64 v[22:23], v[108:109], s[0:1], v[114:115]
	v_add_f64 v[108:109], v[13:14], v[4:5]
	v_add_f64 v[4:5], v[4:5], -v[13:14]
	v_add_f64 v[13:14], v[22:23], v[18:19]
	v_add_f64 v[26:27], v[18:19], -v[22:23]
	v_add_f64 v[22:23], v[156:157], -v[142:143]
	v_add_f64 v[18:19], v[156:157], v[142:143]
	ds_write2_b64 v12, v[4:5], v[13:14] offset0:4 offset1:5
	v_add_f64 v[4:5], v[124:125], v[120:121]
	ds_write2_b64 v12, v[26:27], v[108:109] offset0:2 offset1:3
	v_add_f64 v[13:14], v[158:159], -v[140:141]
	v_add_f64 v[26:27], v[150:151], -v[156:157]
	v_mul_f64 v[22:23], v[22:23], s[14:15]
	v_add_f64 v[18:19], v[18:19], v[150:151]
	ds_write_b64 v12, v[4:5] offset:48
	v_add_f64 v[4:5], v[140:141], v[148:149]
	v_fma_f64 v[114:115], v[26:27], s[8:9], v[22:23]
	v_add_f64 v[4:5], v[158:159], v[4:5]
	v_fma_f64 v[114:115], v[18:19], s[0:1], v[114:115]
	v_add_f64 v[9:10], v[10:11], v[4:5]
	v_add_f64 v[11:12], v[148:149], -v[158:159]
	v_fma_f64 v[4:5], v[4:5], s[6:7], v[9:10]
	v_mul_f64 v[11:12], v[11:12], s[4:5]
	v_fma_f64 v[108:109], v[13:14], s[16:17], v[11:12]
	v_mul_f64 v[13:14], v[13:14], s[16:17]
	v_add_f64 v[108:109], v[108:109], v[4:5]
	v_add_f64 v[116:117], v[108:109], -v[114:115]
	ds_write2_b64 v8, v[9:10], v[116:117] offset1:1
	v_add_f64 v[9:10], v[140:141], -v[148:149]
	v_add_f64 v[116:117], v[142:143], -v[150:151]
	v_fma_f64 v[13:14], v[9:10], s[20:21], -v[13:14]
	v_fma_f64 v[9:10], v[9:10], s[24:25], -v[11:12]
	v_mul_f64 v[11:12], v[116:117], s[18:19]
	v_fma_f64 v[22:23], v[116:117], s[18:19], -v[22:23]
	v_add_f64 v[13:14], v[13:14], v[4:5]
	v_add_f64 v[4:5], v[9:10], v[4:5]
	v_fma_f64 v[11:12], v[26:27], s[22:23], -v[11:12]
	v_fma_f64 v[9:10], v[18:19], s[0:1], v[11:12]
	v_fma_f64 v[11:12], v[18:19], s[0:1], v[22:23]
	v_add_f64 v[18:19], v[4:5], -v[9:10]
	v_add_f64 v[22:23], v[11:12], v[13:14]
	v_add_f64 v[11:12], v[13:14], -v[11:12]
	v_add_f64 v[4:5], v[9:10], v[4:5]
	v_add_f64 v[14:15], v[180:181], v[166:167]
	ds_write2_b64 v8, v[18:19], v[22:23] offset0:2 offset1:3
	v_add_f64 v[18:19], v[174:175], -v[180:181]
	ds_write2_b64 v8, v[11:12], v[4:5] offset0:4 offset1:5
	v_add_f64 v[4:5], v[114:115], v[108:109]
	v_add_f64 v[12:13], v[180:181], -v[166:167]
	v_add_f64 v[10:11], v[182:183], -v[164:165]
	v_add_f64 v[14:15], v[14:15], v[174:175]
	ds_write_b64 v8, v[4:5] offset:48
	v_add_f64 v[4:5], v[164:165], v[172:173]
	v_add_f64 v[8:9], v[172:173], -v[182:183]
	v_mul_f64 v[12:13], v[12:13], s[14:15]
	v_add_f64 v[4:5], v[182:183], v[4:5]
	v_mul_f64 v[8:9], v[8:9], s[4:5]
	v_fma_f64 v[26:27], v[18:19], s[8:9], v[12:13]
	v_add_f64 v[6:7], v[6:7], v[4:5]
	v_fma_f64 v[22:23], v[10:11], s[16:17], v[8:9]
	v_fma_f64 v[26:27], v[14:15], s[0:1], v[26:27]
	v_mul_f64 v[10:11], v[10:11], s[16:17]
	v_fma_f64 v[4:5], v[4:5], s[6:7], v[6:7]
	v_add_f64 v[22:23], v[22:23], v[4:5]
	v_add_f64 v[108:109], v[22:23], -v[26:27]
	ds_write2_b64 v194, v[6:7], v[108:109] offset1:1
	v_add_f64 v[6:7], v[166:167], -v[174:175]
	v_add_f64 v[108:109], v[164:165], -v[172:173]
	v_fma_f64 v[10:11], v[108:109], s[20:21], -v[10:11]
	v_fma_f64 v[8:9], v[108:109], s[24:25], -v[8:9]
	v_mul_f64 v[108:109], v[6:7], s[18:19]
	v_fma_f64 v[6:7], v[6:7], s[18:19], -v[12:13]
	v_add_f64 v[10:11], v[10:11], v[4:5]
	v_add_f64 v[4:5], v[8:9], v[4:5]
	v_fma_f64 v[18:19], v[18:19], s[22:23], -v[108:109]
	v_fma_f64 v[6:7], v[14:15], s[0:1], v[6:7]
	v_fma_f64 v[8:9], v[14:15], s[0:1], v[18:19]
	v_add_f64 v[14:15], v[6:7], v[10:11]
	v_add_f64 v[6:7], v[10:11], -v[6:7]
	v_add_f64 v[12:13], v[4:5], -v[8:9]
	v_add_f64 v[4:5], v[8:9], v[4:5]
	ds_write2_b64 v194, v[12:13], v[14:15] offset0:2 offset1:3
	ds_write2_b64 v194, v[6:7], v[4:5] offset0:4 offset1:5
	v_add_f64 v[4:5], v[26:27], v[22:23]
	v_mov_b32_e32 v15, v238
	ds_write_b64 v194, v[4:5] offset:48
	v_and_b32_e32 v4, 0xff, v238
	s_waitcnt lgkmcnt(0)
	s_waitcnt_vscnt null, 0x0
	s_barrier
	buffer_gl0_inv
	ds_read2_b64 v[8:11], v223 offset0:87 offset1:136
	v_mul_lo_u16 v4, v4, 37
	v_lshrrev_b16 v4, 8, v4
	v_sub_nc_u16 v5, v238, v4
	v_lshrrev_b16 v5, 1, v5
	v_and_b32_e32 v5, 0x7f, v5
	v_add_nc_u16 v4, v5, v4
	v_lshrrev_b16 v252, 2, v4
	v_mul_lo_u16 v4, v252, 7
	v_sub_nc_u16 v155, v238, v4
	v_mul_u32_u24_sdwa v4, v155, v176 dst_sel:DWORD dst_unused:UNUSED_PAD src0_sel:BYTE_0 src1_sel:DWORD
	v_lshlrev_b32_e32 v18, 4, v4
	s_clause 0x1
	global_load_dwordx4 v[4:7], v18, s[12:13]
	global_load_dwordx4 v[177:180], v18, s[12:13] offset:16
	s_waitcnt vmcnt(1) lgkmcnt(0)
	v_mul_f64 v[12:13], v[8:9], v[6:7]
	v_mul_f64 v[6:7], v[104:105], v[6:7]
	v_fma_f64 v[228:229], v[104:105], v[4:5], -v[12:13]
	v_fma_f64 v[110:111], v[8:9], v[4:5], v[6:7]
	v_and_b32_e32 v4, 0xff, v239
	v_mul_lo_u16 v4, v4, 37
	v_lshrrev_b16 v4, 8, v4
	v_sub_nc_u16 v5, v239, v4
	v_lshrrev_b16 v5, 1, v5
	v_and_b32_e32 v5, 0x7f, v5
	v_add_nc_u16 v4, v5, v4
	v_lshrrev_b16 v104, 2, v4
	v_mul_lo_u16 v4, v104, 7
	v_sub_nc_u16 v4, v239, v4
	v_mul_u32_u24_sdwa v5, v4, v176 dst_sel:DWORD dst_unused:UNUSED_PAD src0_sel:BYTE_0 src1_sel:DWORD
	v_lshlrev_b32_e32 v26, 4, v5
	s_clause 0x1
	global_load_dwordx4 v[5:8], v26, s[12:13]
	global_load_dwordx4 v[114:117], v26, s[12:13] offset:16
	ds_read2_b64 v[118:121], v230 offset0:5 offset1:54
	global_load_dwordx4 v[224:227], v18, s[12:13] offset:48
	s_waitcnt vmcnt(2)
	v_mul_f64 v[22:23], v[10:11], v[7:8]
	v_mul_f64 v[7:8], v[106:107], v[7:8]
	v_fma_f64 v[146:147], v[106:107], v[5:6], -v[22:23]
	v_fma_f64 v[184:185], v[10:11], v[5:6], v[7:8]
	s_clause 0x2
	global_load_dwordx4 v[8:11], v18, s[12:13] offset:32
	global_load_dwordx4 v[122:125], v26, s[12:13] offset:32
	;; [unrolled: 1-line block ×3, first 2 shown]
	s_waitcnt vmcnt(2) lgkmcnt(0)
	v_mul_f64 v[5:6], v[118:119], v[10:11]
	v_mul_f64 v[10:11], v[100:101], v[10:11]
	v_fma_f64 v[249:250], v[100:101], v[8:9], -v[5:6]
	v_fma_f64 v[236:237], v[118:119], v[8:9], v[10:11]
	s_waitcnt vmcnt(1)
	v_mul_f64 v[10:11], v[120:121], v[124:125]
	v_and_b32_e32 v5, 0xff, v241
	v_fma_f64 v[186:187], v[102:103], v[122:123], -v[10:11]
	v_mul_f64 v[10:11], v[102:103], v[124:125]
	v_fma_f64 v[170:171], v[120:121], v[122:123], v[10:11]
	s_clause 0x1
	global_load_dwordx4 v[118:121], v18, s[12:13] offset:64
	global_load_dwordx4 v[232:235], v18, s[12:13] offset:80
	ds_read2_b64 v[122:125], v163 offset0:179 offset1:228
	s_waitcnt vmcnt(1) lgkmcnt(0)
	v_mul_f64 v[10:11], v[122:123], v[120:121]
	v_mul_f64 v[18:19], v[96:97], v[120:121]
	v_fma_f64 v[218:219], v[96:97], v[118:119], -v[10:11]
	v_fma_f64 v[245:246], v[122:123], v[118:119], v[18:19]
	s_clause 0x1
	global_load_dwordx4 v[118:121], v26, s[12:13] offset:64
	global_load_dwordx4 v[130:133], v26, s[12:13] offset:80
	buffer_store_dword v5, off, s[36:39], 0 offset:60 ; 4-byte Folded Spill
	v_mul_lo_u16 v5, v5, 37
	buffer_store_dword v220, off, s[36:39], 0 offset:36 ; 4-byte Folded Spill
	v_lshrrev_b16 v5, 8, v5
	s_waitcnt vmcnt(1)
	v_mul_f64 v[22:23], v[124:125], v[120:121]
	v_fma_f64 v[8:9], v[98:99], v[118:119], -v[22:23]
	v_mul_f64 v[22:23], v[98:99], v[120:121]
	ds_read2_b64 v[96:99], v248 offset0:95 offset1:144
	v_fma_f64 v[150:151], v[124:125], v[118:119], v[22:23]
	s_waitcnt lgkmcnt(0)
	v_mul_f64 v[22:23], v[96:97], v[116:117]
	v_fma_f64 v[102:103], v[92:93], v[114:115], -v[22:23]
	v_mul_f64 v[22:23], v[92:93], v[116:117]
	v_fma_f64 v[156:157], v[96:97], v[114:115], v[22:23]
	v_sub_nc_u16 v22, v241, v5
	v_lshrrev_b16 v22, 1, v22
	v_and_b32_e32 v22, 0x7f, v22
	v_add_nc_u16 v5, v22, v5
	v_lshrrev_b16 v203, 2, v5
	v_mul_lo_u16 v5, v203, 7
	v_sub_nc_u16 v202, v241, v5
	v_mul_u32_u24_sdwa v5, v202, v176 dst_sel:DWORD dst_unused:UNUSED_PAD src0_sel:BYTE_0 src1_sel:DWORD
	v_lshlrev_b32_e32 v5, 4, v5
	s_clause 0x1
	global_load_dwordx4 v[116:119], v5, s[12:13] offset:16
	global_load_dwordx4 v[120:123], v5, s[12:13]
	s_waitcnt vmcnt(1)
	v_mul_f64 v[22:23], v[98:99], v[118:119]
	v_fma_f64 v[206:207], v[94:95], v[116:117], -v[22:23]
	v_mul_f64 v[22:23], v[94:95], v[118:119]
	ds_read2_b64 v[92:95], v253 offset0:141 offset1:190
	v_fma_f64 v[142:143], v[98:99], v[116:117], v[22:23]
	s_clause 0x1
	global_load_dwordx4 v[96:99], v5, s[12:13] offset:48
	global_load_dwordx4 v[136:139], v5, s[12:13] offset:32
	s_waitcnt lgkmcnt(0)
	v_mul_f64 v[22:23], v[92:93], v[128:129]
	v_fma_f64 v[182:183], v[88:89], v[126:127], -v[22:23]
	v_mul_f64 v[22:23], v[88:89], v[128:129]
	v_fma_f64 v[168:169], v[92:93], v[126:127], v[22:23]
	s_waitcnt vmcnt(1)
	v_mul_f64 v[22:23], v[94:95], v[98:99]
	v_fma_f64 v[166:167], v[90:91], v[96:97], -v[22:23]
	v_mul_f64 v[22:23], v[90:91], v[98:99]
	ds_read2_b64 v[88:91], v231 offset0:59 offset1:108
	v_fma_f64 v[158:159], v[94:95], v[96:97], v[22:23]
	s_clause 0x1
	global_load_dwordx4 v[92:95], v5, s[12:13] offset:80
	global_load_dwordx4 v[96:99], v5, s[12:13] offset:64
	s_waitcnt lgkmcnt(0)
	v_mul_f64 v[22:23], v[88:89], v[132:133]
	v_and_b32_e32 v5, 0xff, v242
	buffer_store_dword v5, off, s[36:39], 0 offset:76 ; 4-byte Folded Spill
	v_mul_lo_u16 v5, v5, 37
	v_lshrrev_b16 v5, 8, v5
	v_fma_f64 v[190:191], v[84:85], v[130:131], -v[22:23]
	v_mul_f64 v[22:23], v[84:85], v[132:133]
	v_fma_f64 v[144:145], v[88:89], v[130:131], v[22:23]
	s_waitcnt vmcnt(1)
	v_mul_f64 v[22:23], v[90:91], v[94:95]
	v_fma_f64 v[174:175], v[86:87], v[92:93], -v[22:23]
	v_mul_f64 v[22:23], v[86:87], v[94:95]
	ds_read2_b64 v[84:87], v223 offset0:185 offset1:234
	v_fma_f64 v[134:135], v[90:91], v[92:93], v[22:23]
	s_waitcnt lgkmcnt(0)
	v_mul_f64 v[22:23], v[84:85], v[122:123]
	v_fma_f64 v[172:173], v[80:81], v[120:121], -v[22:23]
	v_mul_f64 v[22:23], v[80:81], v[122:123]
	v_fma_f64 v[140:141], v[84:85], v[120:121], v[22:23]
	v_sub_nc_u16 v22, v242, v5
	v_mov_b32_e32 v121, v153
	v_mov_b32_e32 v120, v163
	v_lshrrev_b16 v22, 1, v22
	v_and_b32_e32 v22, 0x7f, v22
	v_add_nc_u16 v5, v22, v5
	v_lshrrev_b16 v80, 2, v5
	v_mul_lo_u16 v5, v80, 7
	v_sub_nc_u16 v81, v242, v5
	v_mul_u32_u24_sdwa v5, v81, v176 dst_sel:DWORD dst_unused:UNUSED_PAD src0_sel:BYTE_0 src1_sel:DWORD
	v_lshlrev_b32_e32 v5, 4, v5
	s_clause 0x1
	global_load_dwordx4 v[88:91], v5, s[12:13]
	global_load_dwordx4 v[92:95], v5, s[12:13] offset:16
	s_waitcnt vmcnt(1)
	v_mul_f64 v[22:23], v[86:87], v[90:91]
	v_fma_f64 v[6:7], v[82:83], v[88:89], -v[22:23]
	v_mul_f64 v[22:23], v[82:83], v[90:91]
	buffer_store_dword v6, off, s[36:39], 0 offset:408 ; 4-byte Folded Spill
	buffer_store_dword v7, off, s[36:39], 0 offset:412 ; 4-byte Folded Spill
	v_fma_f64 v[6:7], v[86:87], v[88:89], v[22:23]
	buffer_store_dword v6, off, s[36:39], 0 offset:376 ; 4-byte Folded Spill
	buffer_store_dword v7, off, s[36:39], 0 offset:380 ; 4-byte Folded Spill
	ds_read2_b64 v[82:85], v230 offset0:103 offset1:152
	s_clause 0x1
	global_load_dwordx4 v[86:89], v5, s[12:13] offset:32
	global_load_dwordx4 v[130:133], v5, s[12:13] offset:48
	s_waitcnt lgkmcnt(0)
	v_mul_f64 v[22:23], v[82:83], v[138:139]
	v_fma_f64 v[126:127], v[76:77], v[136:137], -v[22:23]
	v_mul_f64 v[22:23], v[76:77], v[138:139]
	v_fma_f64 v[128:129], v[82:83], v[136:137], v[22:23]
	s_waitcnt vmcnt(1)
	v_mul_f64 v[22:23], v[84:85], v[88:89]
	v_fma_f64 v[100:101], v[78:79], v[86:87], -v[22:23]
	v_mul_f64 v[22:23], v[78:79], v[88:89]
	v_mov_b32_e32 v189, v101
	v_fma_f64 v[6:7], v[84:85], v[86:87], v[22:23]
	buffer_store_dword v6, off, s[36:39], 0 offset:432 ; 4-byte Folded Spill
	buffer_store_dword v7, off, s[36:39], 0 offset:436 ; 4-byte Folded Spill
	ds_read2_b64 v[76:79], v17 offset0:21 offset1:70
	s_clause 0x1
	global_load_dwordx4 v[82:85], v5, s[12:13] offset:64
	global_load_dwordx4 v[86:89], v5, s[12:13] offset:80
	v_and_b32_e32 v5, 0xff, v243
	v_mov_b32_e32 v6, v16
	v_mov_b32_e32 v188, v100
	buffer_store_dword v5, off, s[36:39], 0 offset:68 ; 4-byte Folded Spill
	v_mul_lo_u16 v5, v5, 37
	buffer_store_dword v6, off, s[36:39], 0 offset:8 ; 4-byte Folded Spill
	v_lshrrev_b16 v5, 8, v5
	s_waitcnt lgkmcnt(0)
	v_mul_f64 v[22:23], v[76:77], v[98:99]
	v_fma_f64 v[164:165], v[72:73], v[96:97], -v[22:23]
	v_mul_f64 v[22:23], v[72:73], v[98:99]
	v_fma_f64 v[124:125], v[76:77], v[96:97], v[22:23]
	s_waitcnt vmcnt(1)
	v_mul_f64 v[22:23], v[78:79], v[84:85]
	v_fma_f64 v[136:137], v[74:75], v[82:83], -v[22:23]
	v_mul_f64 v[22:23], v[74:75], v[84:85]
	ds_read2_b64 v[72:75], v16 offset0:65 offset1:114
	v_fma_f64 v[148:149], v[78:79], v[82:83], v[22:23]
	s_waitcnt lgkmcnt(0)
	v_mul_f64 v[22:23], v[72:73], v[94:95]
	v_fma_f64 v[12:13], v[68:69], v[92:93], -v[22:23]
	v_mul_f64 v[22:23], v[68:69], v[94:95]
	v_fma_f64 v[16:17], v[72:73], v[92:93], v[22:23]
	v_sub_nc_u16 v22, v243, v5
	v_lshrrev_b16 v22, 1, v22
	v_and_b32_e32 v22, 0x7f, v22
	v_add_nc_u16 v5, v22, v5
	v_lshrrev_b16 v14, 2, v5
	v_mul_lo_u16 v5, v14, 7
	v_sub_nc_u16 v239, v243, v5
	v_mul_u32_u24_sdwa v5, v239, v176 dst_sel:DWORD dst_unused:UNUSED_PAD src0_sel:BYTE_0 src1_sel:DWORD
	v_lshlrev_b32_e32 v5, 4, v5
	s_clause 0x1
	global_load_dwordx4 v[76:79], v5, s[12:13] offset:16
	global_load_dwordx4 v[82:85], v5, s[12:13]
	s_waitcnt vmcnt(1)
	v_mul_f64 v[22:23], v[74:75], v[78:79]
	v_fma_f64 v[21:22], v[70:71], v[76:77], -v[22:23]
	buffer_store_dword v21, off, s[36:39], 0 offset:392 ; 4-byte Folded Spill
	buffer_store_dword v22, off, s[36:39], 0 offset:396 ; 4-byte Folded Spill
	v_mul_f64 v[22:23], v[70:71], v[78:79]
	v_mov_b32_e32 v78, 0x2493
	v_fma_f64 v[21:22], v[74:75], v[76:77], v[22:23]
	buffer_store_dword v21, off, s[36:39], 0 offset:368 ; 4-byte Folded Spill
	buffer_store_dword v22, off, s[36:39], 0 offset:372 ; 4-byte Folded Spill
	ds_read2_b64 v[70:73], v20 offset0:111 offset1:160
	s_clause 0x1
	global_load_dwordx4 v[74:77], v5, s[12:13] offset:48
	global_load_dwordx4 v[90:93], v5, s[12:13] offset:32
	s_waitcnt lgkmcnt(0)
	v_mul_f64 v[22:23], v[70:71], v[132:133]
	v_fma_f64 v[96:97], v[64:65], v[130:131], -v[22:23]
	v_mul_f64 v[22:23], v[64:65], v[132:133]
	v_fma_f64 v[114:115], v[70:71], v[130:131], v[22:23]
	s_waitcnt vmcnt(1)
	v_mul_f64 v[22:23], v[72:73], v[76:77]
	v_fma_f64 v[20:21], v[66:67], v[74:75], -v[22:23]
	v_mul_f64 v[22:23], v[66:67], v[76:77]
	buffer_store_dword v20, off, s[36:39], 0 offset:416 ; 4-byte Folded Spill
	buffer_store_dword v21, off, s[36:39], 0 offset:420 ; 4-byte Folded Spill
	v_fma_f64 v[20:21], v[72:73], v[74:75], v[22:23]
	buffer_store_dword v20, off, s[36:39], 0 offset:400 ; 4-byte Folded Spill
	buffer_store_dword v21, off, s[36:39], 0 offset:404 ; 4-byte Folded Spill
	ds_read2_b64 v[64:67], v231 offset0:157 offset1:206
	s_clause 0x1
	global_load_dwordx4 v[70:73], v5, s[12:13] offset:80
	global_load_dwordx4 v[74:77], v5, s[12:13] offset:64
	v_mul_u32_u24_sdwa v5, v244, v78 dst_sel:DWORD dst_unused:UNUSED_PAD src0_sel:WORD_0 src1_sel:DWORD
	v_lshrrev_b32_e32 v5, 16, v5
	s_waitcnt lgkmcnt(0)
	v_mul_f64 v[22:23], v[64:65], v[88:89]
	v_fma_f64 v[94:95], v[60:61], v[86:87], -v[22:23]
	v_mul_f64 v[22:23], v[60:61], v[88:89]
	v_mov_b32_e32 v161, v95
	v_fma_f64 v[108:109], v[64:65], v[86:87], v[22:23]
	v_mov_b32_e32 v160, v94
	s_waitcnt vmcnt(1)
	v_mul_f64 v[22:23], v[66:67], v[72:73]
	v_fma_f64 v[130:131], v[62:63], v[70:71], -v[22:23]
	v_mul_f64 v[22:23], v[62:63], v[72:73]
	v_fma_f64 v[20:21], v[66:67], v[70:71], v[22:23]
	buffer_store_dword v20, off, s[36:39], 0 offset:440 ; 4-byte Folded Spill
	buffer_store_dword v21, off, s[36:39], 0 offset:444 ; 4-byte Folded Spill
	ds_read2_b64 v[60:63], v222 offset0:27 offset1:76
	s_waitcnt lgkmcnt(0)
	v_mul_f64 v[22:23], v[60:61], v[84:85]
	v_fma_f64 v[138:139], v[56:57], v[82:83], -v[22:23]
	v_mul_f64 v[22:23], v[56:57], v[84:85]
	v_fma_f64 v[20:21], v[60:61], v[82:83], v[22:23]
	v_sub_nc_u16 v22, v244, v5
	buffer_store_dword v20, off, s[36:39], 0 offset:448 ; 4-byte Folded Spill
	buffer_store_dword v21, off, s[36:39], 0 offset:452 ; 4-byte Folded Spill
	v_lshrrev_b16 v22, 1, v22
	v_add_nc_u16 v5, v22, v5
	v_lshrrev_b16 v5, 2, v5
	v_mul_lo_u16 v22, v5, 7
	v_sub_nc_u16 v56, v244, v22
	v_mul_u32_u24_sdwa v22, v56, v176 dst_sel:DWORD dst_unused:UNUSED_PAD src0_sel:WORD_0 src1_sel:DWORD
	v_lshlrev_b32_e32 v26, 4, v22
	s_clause 0x1
	global_load_dwordx4 v[64:67], v26, s[12:13]
	global_load_dwordx4 v[70:73], v26, s[12:13] offset:16
	s_waitcnt vmcnt(1)
	v_mul_f64 v[22:23], v[62:63], v[66:67]
	v_fma_f64 v[20:21], v[58:59], v[64:65], -v[22:23]
	v_mul_f64 v[22:23], v[58:59], v[66:67]
	buffer_store_dword v20, off, s[36:39], 0 offset:360 ; 4-byte Folded Spill
	buffer_store_dword v21, off, s[36:39], 0 offset:364 ; 4-byte Folded Spill
	v_fma_f64 v[20:21], v[62:63], v[64:65], v[22:23]
	buffer_store_dword v20, off, s[36:39], 0 offset:352 ; 4-byte Folded Spill
	buffer_store_dword v21, off, s[36:39], 0 offset:356 ; 4-byte Folded Spill
	ds_read2_b64 v[57:60], v230 offset0:201 offset1:250
	v_mov_b32_e32 v66, 3
	s_waitcnt lgkmcnt(0)
	v_mul_f64 v[22:23], v[57:58], v[92:93]
	v_fma_f64 v[122:123], v[52:53], v[90:91], -v[22:23]
	v_mul_f64 v[22:23], v[52:53], v[92:93]
	v_fma_f64 v[200:201], v[57:58], v[90:91], v[22:23]
	s_clause 0x1
	global_load_dwordx4 v[61:64], v26, s[12:13] offset:32
	global_load_dwordx4 v[88:91], v26, s[12:13] offset:48
	v_mov_b32_e32 v100, v200
	v_mov_b32_e32 v101, v201
	s_waitcnt vmcnt(1)
	v_mul_f64 v[22:23], v[59:60], v[63:64]
	v_fma_f64 v[20:21], v[54:55], v[61:62], -v[22:23]
	v_mul_f64 v[22:23], v[54:55], v[63:64]
	buffer_store_dword v20, off, s[36:39], 0 offset:384 ; 4-byte Folded Spill
	buffer_store_dword v21, off, s[36:39], 0 offset:388 ; 4-byte Folded Spill
	v_fma_f64 v[92:93], v[59:60], v[61:62], v[22:23]
	ds_read2_b64 v[52:55], v209 offset0:119 offset1:168
	s_clause 0x1
	global_load_dwordx4 v[57:60], v26, s[12:13] offset:64
	global_load_dwordx4 v[61:64], v26, s[12:13] offset:80
	v_mul_f64 v[26:27], v[42:43], v[179:180]
	v_mov_b32_e32 v209, v147
	v_mov_b32_e32 v208, v146
	;; [unrolled: 1-line block ×4, first 2 shown]
	s_waitcnt lgkmcnt(0)
	v_mul_f64 v[22:23], v[52:53], v[76:77]
	v_fma_f64 v[84:85], v[48:49], v[74:75], -v[22:23]
	v_mul_f64 v[22:23], v[48:49], v[76:77]
	v_fma_f64 v[86:87], v[52:53], v[74:75], v[22:23]
	v_mov_b32_e32 v95, v87
	v_mov_b32_e32 v94, v86
	s_waitcnt vmcnt(1)
	v_mul_f64 v[22:23], v[54:55], v[59:60]
	v_fma_f64 v[20:21], v[50:51], v[57:58], -v[22:23]
	v_mul_f64 v[22:23], v[50:51], v[59:60]
	buffer_store_dword v20, off, s[36:39], 0 offset:552 ; 4-byte Folded Spill
	buffer_store_dword v21, off, s[36:39], 0 offset:556 ; 4-byte Folded Spill
	v_fma_f64 v[20:21], v[54:55], v[57:58], v[22:23]
	buffer_store_dword v20, off, s[36:39], 0 offset:536 ; 4-byte Folded Spill
	buffer_store_dword v21, off, s[36:39], 0 offset:540 ; 4-byte Folded Spill
	ds_read2_b64 v[48:51], v222 offset0:125 offset1:174
	s_waitcnt lgkmcnt(0)
	v_mul_f64 v[22:23], v[50:51], v[179:180]
	v_fma_f64 v[247:248], v[50:51], v[177:178], v[26:27]
	v_mov_b32_e32 v179, v253
	v_mov_b32_e32 v181, v9
	;; [unrolled: 1-line block ×3, first 2 shown]
	v_fma_f64 v[194:195], v[42:43], v[177:178], -v[22:23]
	v_mul_u32_u24_sdwa v42, v240, v78 dst_sel:DWORD dst_unused:UNUSED_PAD src0_sel:WORD_0 src1_sel:DWORD
	v_mov_b32_e32 v178, v204
	v_lshrrev_b32_e32 v42, 16, v42
	v_sub_nc_u16 v43, v240, v42
	v_lshrrev_b16 v43, 1, v43
	v_add_nc_u16 v42, v43, v42
	v_lshrrev_b16 v42, 2, v42
	v_mul_lo_u16 v43, v42, 7
	v_sub_nc_u16 v43, v240, v43
	v_mul_u32_u24_sdwa v50, v43, v176 dst_sel:DWORD dst_unused:UNUSED_PAD src0_sel:WORD_0 src1_sel:DWORD
	v_mov_b32_e32 v177, v103
	v_mov_b32_e32 v176, v102
	v_lshlrev_b32_e32 v65, 4, v50
	s_clause 0x1
	global_load_dwordx4 v[50:53], v65, s[12:13]
	global_load_dwordx4 v[57:60], v65, s[12:13] offset:16
	s_waitcnt vmcnt(1)
	v_mul_f64 v[54:55], v[48:49], v[52:53]
	v_fma_f64 v[20:21], v[40:41], v[50:51], -v[54:55]
	v_mul_f64 v[40:41], v[40:41], v[52:53]
	buffer_store_dword v20, off, s[36:39], 0 offset:464 ; 4-byte Folded Spill
	buffer_store_dword v21, off, s[36:39], 0 offset:468 ; 4-byte Folded Spill
	v_fma_f64 v[20:21], v[48:49], v[50:51], v[40:41]
	buffer_store_dword v20, off, s[36:39], 0 offset:424 ; 4-byte Folded Spill
	buffer_store_dword v21, off, s[36:39], 0 offset:428 ; 4-byte Folded Spill
	ds_read2_b64 v[48:51], v6 offset0:163 offset1:212
	s_waitcnt lgkmcnt(0)
	v_mul_f64 v[40:41], v[48:49], v[72:73]
	v_fma_f64 v[20:21], v[44:45], v[70:71], -v[40:41]
	v_mul_f64 v[40:41], v[44:45], v[72:73]
	v_lshl_add_u32 v73, v244, 3, 0
	v_fma_f64 v[68:69], v[48:49], v[70:71], v[40:41]
	s_waitcnt vmcnt(0)
	v_mul_f64 v[40:41], v[50:51], v[59:60]
	v_mov_b32_e32 v70, v152
	v_lshl_add_u32 v71, v242, 3, 0
	v_fma_f64 v[6:7], v[46:47], v[57:58], -v[40:41]
	v_mul_f64 v[40:41], v[46:47], v[59:60]
	buffer_store_dword v6, off, s[36:39], 0 offset:488 ; 4-byte Folded Spill
	buffer_store_dword v7, off, s[36:39], 0 offset:492 ; 4-byte Folded Spill
	v_fma_f64 v[6:7], v[50:51], v[57:58], v[40:41]
	buffer_store_dword v6, off, s[36:39], 0 offset:472 ; 4-byte Folded Spill
	buffer_store_dword v7, off, s[36:39], 0 offset:476 ; 4-byte Folded Spill
	ds_read2_b64 v[44:47], v253 offset0:43 offset1:92
	s_waitcnt lgkmcnt(0)
	v_mul_f64 v[40:41], v[46:47], v[226:227]
	v_fma_f64 v[82:83], v[34:35], v[224:225], -v[40:41]
	v_mul_f64 v[34:35], v[34:35], v[226:227]
	v_fma_f64 v[75:76], v[46:47], v[224:225], v[34:35]
	s_clause 0x1
	global_load_dwordx4 v[46:49], v65, s[12:13] offset:32
	global_load_dwordx4 v[50:53], v65, s[12:13] offset:48
	s_waitcnt vmcnt(1)
	v_mul_f64 v[54:55], v[44:45], v[48:49]
	v_fma_f64 v[6:7], v[32:33], v[46:47], -v[54:55]
	v_mul_f64 v[32:33], v[32:33], v[48:49]
	buffer_store_dword v6, off, s[36:39], 0 offset:520 ; 4-byte Folded Spill
	buffer_store_dword v7, off, s[36:39], 0 offset:524 ; 4-byte Folded Spill
	v_fma_f64 v[6:7], v[44:45], v[46:47], v[32:33]
	buffer_store_dword v6, off, s[36:39], 0 offset:504 ; 4-byte Folded Spill
	buffer_store_dword v7, off, s[36:39], 0 offset:508 ; 4-byte Folded Spill
	ds_read2_b64 v[44:47], v163 offset0:81 offset1:130
	v_mov_b32_e32 v163, v127
	v_mov_b32_e32 v162, v126
	v_mov_b32_e32 v126, v140
	v_mov_b32_e32 v127, v141
	v_mov_b32_e32 v141, v137
	v_mov_b32_e32 v140, v136
	v_mov_b32_e32 v137, v13
	v_mov_b32_e32 v136, v12
	s_waitcnt lgkmcnt(0)
	v_mul_f64 v[32:33], v[44:45], v[90:91]
	v_fma_f64 v[34:35], v[36:37], v[88:89], -v[32:33]
	v_mul_f64 v[32:33], v[36:37], v[90:91]
	v_mov_b32_e32 v87, v35
	v_fma_f64 v[26:27], v[44:45], v[88:89], v[32:33]
	s_waitcnt vmcnt(0)
	v_mul_f64 v[32:33], v[46:47], v[52:53]
	v_mov_b32_e32 v86, v34
	v_mov_b32_e32 v34, v68
	;; [unrolled: 1-line block ×3, first 2 shown]
	v_fma_f64 v[6:7], v[38:39], v[50:51], -v[32:33]
	v_mul_f64 v[32:33], v[38:39], v[52:53]
	buffer_store_dword v6, off, s[36:39], 0 offset:560 ; 4-byte Folded Spill
	buffer_store_dword v7, off, s[36:39], 0 offset:564 ; 4-byte Folded Spill
	v_fma_f64 v[6:7], v[46:47], v[50:51], v[32:33]
	buffer_store_dword v6, off, s[36:39], 0 offset:544 ; 4-byte Folded Spill
	buffer_store_dword v7, off, s[36:39], 0 offset:548 ; 4-byte Folded Spill
	;; [unrolled: 1-line block ×3, first 2 shown]
	ds_read2_b64 v[36:39], v204 offset0:89 offset1:138
	s_clause 0x1
	global_load_dwordx4 v[44:47], v65, s[12:13] offset:64
	global_load_dwordx4 v[48:51], v65, s[12:13] offset:80
	s_clause 0x2
	buffer_load_dword v67, off, s[36:39], 0
	buffer_load_dword v72, off, s[36:39], 0 offset:4
	buffer_load_dword v74, off, s[36:39], 0 offset:12
	v_mov_b32_e32 v65, 0x188
	buffer_store_dword v121, off, s[36:39], 0 offset:52 ; 4-byte Folded Spill
	buffer_store_dword v221, off, s[36:39], 0 offset:132 ; 4-byte Folded Spill
	;; [unrolled: 1-line block ×5, first 2 shown]
	ds_read_b64 v[254:255], v152
	ds_read_b64 v[212:213], v73
	s_waitcnt lgkmcnt(2)
	v_mul_f64 v[32:33], v[38:39], v[234:235]
	v_fma_f64 v[6:7], v[30:31], v[232:233], -v[32:33]
	v_mul_f64 v[30:31], v[30:31], v[234:235]
	v_mov_b32_e32 v235, v21
	v_mov_b32_e32 v234, v20
	v_fma_f64 v[78:79], v[38:39], v[232:233], v[30:31]
	s_waitcnt vmcnt(4)
	v_mul_f64 v[38:39], v[36:37], v[46:47]
	s_waitcnt vmcnt(2)
	ds_read_b64 v[204:205], v67
	s_waitcnt vmcnt(1)
	ds_read_b64 v[210:211], v72
	s_waitcnt vmcnt(0)
	ds_read_b64 v[214:215], v74
	v_fma_f64 v[232:233], v[28:29], v[44:45], -v[38:39]
	v_mul_f64 v[28:29], v[28:29], v[46:47]
	v_add_f64 v[46:47], v[247:248], -v[245:246]
	v_fma_f64 v[226:227], v[36:37], v[44:45], v[28:29]
	ds_read2_b64 v[36:39], v153 offset0:127 offset1:176
	v_mov_b32_e32 v153, v125
	v_mov_b32_e32 v152, v124
	;; [unrolled: 1-line block ×4, first 2 shown]
	s_waitcnt lgkmcnt(0)
	v_mul_f64 v[28:29], v[36:37], v[63:64]
	v_fma_f64 v[98:99], v[0:1], v[61:62], -v[28:29]
	v_mul_f64 v[0:1], v[0:1], v[63:64]
	v_add_f64 v[28:29], v[249:250], v[82:83]
	v_fma_f64 v[88:89], v[36:37], v[61:62], v[0:1]
	v_mul_f64 v[0:1], v[38:39], v[50:51]
	ds_read_b64 v[61:62], v221
	v_fma_f64 v[30:31], v[2:3], v[48:49], -v[0:1]
	v_mul_f64 v[0:1], v[2:3], v[50:51]
	v_add_f64 v[2:3], v[194:195], v[218:219]
	v_add_f64 v[50:51], v[110:111], -v[78:79]
	v_add_f64 v[110:111], v[110:111], v[78:79]
	v_mov_b32_e32 v69, v31
	v_fma_f64 v[224:225], v[38:39], v[48:49], v[0:1]
	v_mul_u32_u24_sdwa v0, v252, v65 dst_sel:DWORD dst_unused:UNUSED_PAD src0_sel:WORD_0 src1_sel:DWORD
	v_lshlrev_b32_sdwa v1, v66, v155 dst_sel:DWORD dst_unused:UNUSED_PAD src0_sel:DWORD src1_sel:BYTE_0
	v_add_f64 v[48:49], v[75:76], -v[236:237]
	ds_read_b64 v[252:253], v71
	s_waitcnt lgkmcnt(0)
	s_waitcnt_vscnt null, 0x0
	s_barrier
	v_add3_u32 v243, 0, v0, v1
	v_add_f64 v[0:1], v[228:229], v[6:7]
	buffer_gl0_inv
	v_mov_b32_e32 v155, v143
	v_mov_b32_e32 v154, v142
	v_mov_b32_e32 v143, v129
	v_mov_b32_e32 v142, v128
	v_mov_b32_e32 v129, v17
	v_mov_b32_e32 v128, v16
	v_mov_b32_e32 v68, v30
	v_add_f64 v[52:53], v[48:49], -v[46:47]
	v_add_f64 v[54:55], v[48:49], v[46:47]
	v_add_f64 v[48:49], v[50:51], -v[48:49]
	v_add_f64 v[36:37], v[2:3], v[0:1]
	v_add_f64 v[38:39], v[0:1], -v[28:29]
	v_add_f64 v[0:1], v[2:3], -v[0:1]
	v_mul_f64 v[52:53], v[52:53], s[14:15]
	v_add_f64 v[54:55], v[54:55], v[50:51]
	v_add_f64 v[36:37], v[28:29], v[36:37]
	v_add_f64 v[28:29], v[28:29], -v[2:3]
	v_mul_f64 v[38:39], v[38:39], s[4:5]
	v_fma_f64 v[59:60], v[48:49], s[8:9], v[52:53]
	v_add_f64 v[44:45], v[112:113], v[36:37]
	v_mul_f64 v[2:3], v[28:29], s[16:17]
	v_fma_f64 v[57:58], v[28:29], s[16:17], v[38:39]
	v_mov_b32_e32 v113, v85
	v_mov_b32_e32 v112, v84
	v_fma_f64 v[59:60], v[54:55], s[0:1], v[59:60]
	v_fma_f64 v[36:37], v[36:37], s[6:7], v[44:45]
	v_fma_f64 v[2:3], v[0:1], s[20:21], -v[2:3]
	v_fma_f64 v[0:1], v[0:1], s[24:25], -v[38:39]
	v_add_f64 v[57:58], v[57:58], v[36:37]
	v_add_f64 v[2:3], v[2:3], v[36:37]
	;; [unrolled: 1-line block ×4, first 2 shown]
	ds_write2_b64 v243, v[44:45], v[63:64] offset1:7
	v_add_f64 v[44:45], v[46:47], -v[50:51]
	v_add_f64 v[46:47], v[156:157], -v[150:151]
	v_mul_f64 v[28:29], v[44:45], s[18:19]
	v_fma_f64 v[38:39], v[44:45], s[18:19], -v[52:53]
	v_add_f64 v[52:53], v[184:185], -v[144:145]
	v_fma_f64 v[28:29], v[48:49], s[22:23], -v[28:29]
	v_fma_f64 v[36:37], v[54:55], s[0:1], v[38:39]
	v_add_f64 v[48:49], v[168:169], -v[170:171]
	v_fma_f64 v[28:29], v[54:55], s[0:1], v[28:29]
	v_add_f64 v[44:45], v[2:3], -v[36:37]
	v_add_f64 v[2:3], v[36:37], v[2:3]
	v_add_f64 v[50:51], v[48:49], -v[46:47]
	v_add_f64 v[54:55], v[48:49], v[46:47]
	;; [unrolled: 2-line block ×4, first 2 shown]
	v_mul_f64 v[50:51], v[50:51], s[14:15]
	v_add_f64 v[54:55], v[54:55], v[52:53]
	ds_write2_b64 v243, v[38:39], v[44:45] offset0:14 offset1:21
	ds_write2_b64 v243, v[2:3], v[0:1] offset0:28 offset1:35
	v_add_f64 v[0:1], v[57:58], -v[59:60]
	v_add_f64 v[2:3], v[176:177], v[180:181]
	v_fma_f64 v[59:60], v[48:49], s[8:9], v[50:51]
	ds_write_b64 v243, v[0:1] offset:336
	s_clause 0x1
	buffer_load_dword v22, off, s[36:39], 0 offset:116
	buffer_load_dword v23, off, s[36:39], 0 offset:120
	v_mul_u32_u24_sdwa v0, v104, v65 dst_sel:DWORD dst_unused:UNUSED_PAD src0_sel:WORD_0 src1_sel:DWORD
	v_lshlrev_b32_sdwa v1, v66, v4 dst_sel:DWORD dst_unused:UNUSED_PAD src0_sel:DWORD src1_sel:BYTE_0
	v_add_f64 v[38:39], v[28:29], -v[2:3]
	v_fma_f64 v[59:60], v[54:55], s[0:1], v[59:60]
	v_add3_u32 v238, 0, v0, v1
	v_add_f64 v[0:1], v[208:209], v[190:191]
	v_add_f64 v[36:37], v[2:3], v[0:1]
	;; [unrolled: 1-line block ×3, first 2 shown]
	v_add_f64 v[28:29], v[0:1], -v[28:29]
	v_add_f64 v[0:1], v[2:3], -v[0:1]
	v_mul_f64 v[2:3], v[38:39], s[16:17]
	v_mul_f64 v[28:29], v[28:29], s[4:5]
	v_fma_f64 v[2:3], v[0:1], s[20:21], -v[2:3]
	v_fma_f64 v[57:58], v[38:39], s[16:17], v[28:29]
	v_fma_f64 v[0:1], v[0:1], s[24:25], -v[28:29]
	s_waitcnt vmcnt(0)
	v_add_f64 v[44:45], v[22:23], v[36:37]
	v_fma_f64 v[36:37], v[36:37], s[6:7], v[44:45]
	v_add_f64 v[57:58], v[57:58], v[36:37]
	v_add_f64 v[2:3], v[2:3], v[36:37]
	;; [unrolled: 1-line block ×4, first 2 shown]
	ds_write2_b64 v238, v[44:45], v[63:64] offset1:7
	v_add_f64 v[44:45], v[46:47], -v[52:53]
	v_add_f64 v[46:47], v[158:159], -v[142:143]
	v_mul_f64 v[38:39], v[44:45], s[18:19]
	v_fma_f64 v[28:29], v[44:45], s[18:19], -v[50:51]
	v_fma_f64 v[38:39], v[48:49], s[22:23], -v[38:39]
	v_fma_f64 v[28:29], v[54:55], s[0:1], v[28:29]
	v_add_f64 v[48:49], v[126:127], -v[134:135]
	v_fma_f64 v[36:37], v[54:55], s[0:1], v[38:39]
	v_add_f64 v[38:39], v[2:3], -v[28:29]
	v_add_f64 v[2:3], v[28:29], v[2:3]
	v_add_f64 v[28:29], v[162:163], v[166:167]
	;; [unrolled: 1-line block ×3, first 2 shown]
	v_add_f64 v[0:1], v[0:1], -v[36:37]
	ds_write2_b64 v238, v[44:45], v[38:39] offset0:14 offset1:21
	ds_write2_b64 v238, v[2:3], v[0:1] offset0:28 offset1:35
	v_add_f64 v[0:1], v[57:58], -v[59:60]
	v_add_f64 v[2:3], v[206:207], v[164:165]
	v_add_f64 v[44:45], v[154:155], -v[152:153]
	ds_write_b64 v238, v[0:1] offset:336
	s_clause 0x1
	buffer_load_dword v18, off, s[36:39], 0 offset:108
	buffer_load_dword v19, off, s[36:39], 0 offset:112
	v_mul_u32_u24_sdwa v0, v203, v65 dst_sel:DWORD dst_unused:UNUSED_PAD src0_sel:WORD_0 src1_sel:DWORD
	v_lshlrev_b32_sdwa v1, v66, v202 dst_sel:DWORD dst_unused:UNUSED_PAD src0_sel:DWORD src1_sel:BYTE_0
	v_add_f64 v[52:53], v[46:47], -v[44:45]
	v_add_f64 v[50:51], v[46:47], v[44:45]
	v_add_f64 v[46:47], v[48:49], -v[46:47]
	v_add_f64 v[202:203], v[247:248], v[245:246]
	v_add3_u32 v8, 0, v0, v1
	v_add_f64 v[0:1], v[172:173], v[174:175]
	v_mul_f64 v[52:53], v[52:53], s[14:15]
	v_add_f64 v[50:51], v[50:51], v[48:49]
	v_add_f64 v[36:37], v[2:3], v[0:1]
	v_add_f64 v[38:39], v[0:1], -v[28:29]
	v_add_f64 v[0:1], v[2:3], -v[0:1]
	v_fma_f64 v[57:58], v[46:47], s[8:9], v[52:53]
	v_add_f64 v[36:37], v[28:29], v[36:37]
	v_add_f64 v[28:29], v[28:29], -v[2:3]
	v_mul_f64 v[38:39], v[38:39], s[4:5]
	v_add_f64 v[2:3], v[44:45], -v[48:49]
	v_add_f64 v[44:45], v[128:129], -v[148:149]
	v_fma_f64 v[57:58], v[50:51], s[0:1], v[57:58]
	v_fma_f64 v[54:55], v[28:29], s[16:17], v[38:39]
	s_waitcnt vmcnt(0)
	v_add_f64 v[24:25], v[18:19], v[36:37]
	v_fma_f64 v[36:37], v[36:37], s[6:7], v[24:25]
	v_add_f64 v[54:55], v[54:55], v[36:37]
	v_add_f64 v[59:60], v[57:58], v[54:55]
	ds_write2_b64 v8, v[24:25], v[59:60] offset1:7
	v_mul_f64 v[24:25], v[28:29], s[16:17]
	v_fma_f64 v[28:29], v[2:3], s[18:19], -v[52:53]
	v_mul_f64 v[2:3], v[2:3], s[18:19]
	v_fma_f64 v[24:25], v[0:1], s[20:21], -v[24:25]
	v_fma_f64 v[0:1], v[0:1], s[24:25], -v[38:39]
	;; [unrolled: 1-line block ×3, first 2 shown]
	v_fma_f64 v[28:29], v[50:51], s[0:1], v[28:29]
	v_add_f64 v[24:25], v[24:25], v[36:37]
	v_add_f64 v[0:1], v[0:1], v[36:37]
	v_fma_f64 v[2:3], v[50:51], s[0:1], v[2:3]
	v_add_f64 v[36:37], v[24:25], -v[28:29]
	v_add_f64 v[24:25], v[28:29], v[24:25]
	v_add_f64 v[38:39], v[2:3], v[0:1]
	v_add_f64 v[0:1], v[0:1], -v[2:3]
	v_add_f64 v[2:3], v[136:137], v[140:141]
	ds_write2_b64 v8, v[38:39], v[36:37] offset0:14 offset1:21
	ds_write2_b64 v8, v[24:25], v[0:1] offset0:28 offset1:35
	v_add_f64 v[0:1], v[54:55], -v[57:58]
	v_add_f64 v[24:25], v[188:189], v[146:147]
	ds_write_b64 v8, v[0:1] offset:336
	s_clause 0x7
	buffer_load_dword v192, off, s[36:39], 0 offset:408
	buffer_load_dword v193, off, s[36:39], 0 offset:412
	;; [unrolled: 1-line block ×8, first 2 shown]
	v_mul_u32_u24_sdwa v0, v80, v65 dst_sel:DWORD dst_unused:UNUSED_PAD src0_sel:WORD_0 src1_sel:DWORD
	v_lshlrev_b32_sdwa v1, v66, v81 dst_sel:DWORD dst_unused:UNUSED_PAD src0_sel:DWORD src1_sel:BYTE_0
	v_add3_u32 v9, 0, v0, v1
	s_waitcnt vmcnt(6)
	v_add_f64 v[0:1], v[192:193], v[160:161]
	s_waitcnt vmcnt(2)
	v_add_f64 v[46:47], v[114:115], -v[118:119]
	s_waitcnt vmcnt(0)
	v_add_f64 v[50:51], v[132:133], -v[108:109]
	v_add_f64 v[114:115], v[118:119], v[114:115]
	v_add_f64 v[28:29], v[2:3], v[0:1]
	v_add_f64 v[36:37], v[0:1], -v[24:25]
	v_add_f64 v[48:49], v[46:47], -v[44:45]
	v_add_f64 v[52:53], v[46:47], v[44:45]
	v_add_f64 v[46:47], v[50:51], -v[46:47]
	v_add_f64 v[0:1], v[2:3], -v[0:1]
	v_add_f64 v[28:29], v[24:25], v[28:29]
	v_add_f64 v[24:25], v[24:25], -v[2:3]
	v_mul_f64 v[36:37], v[36:37], s[4:5]
	v_mul_f64 v[48:49], v[48:49], s[14:15]
	v_add_f64 v[2:3], v[44:45], -v[50:51]
	v_add_f64 v[52:53], v[52:53], v[50:51]
	v_add_f64 v[38:39], v[10:11], v[28:29]
	v_fma_f64 v[54:55], v[24:25], s[16:17], v[36:37]
	v_mul_f64 v[24:25], v[24:25], s[16:17]
	v_fma_f64 v[57:58], v[46:47], s[8:9], v[48:49]
	v_fma_f64 v[28:29], v[28:29], s[6:7], v[38:39]
	v_fma_f64 v[24:25], v[0:1], s[20:21], -v[24:25]
	v_fma_f64 v[0:1], v[0:1], s[24:25], -v[36:37]
	;; [unrolled: 1-line block ×3, first 2 shown]
	v_mul_f64 v[2:3], v[2:3], s[18:19]
	v_fma_f64 v[57:58], v[52:53], s[0:1], v[57:58]
	v_add_f64 v[54:55], v[54:55], v[28:29]
	v_add_f64 v[24:25], v[24:25], v[28:29]
	;; [unrolled: 1-line block ×3, first 2 shown]
	v_fma_f64 v[28:29], v[52:53], s[0:1], v[36:37]
	v_fma_f64 v[2:3], v[46:47], s[22:23], -v[2:3]
	v_add_f64 v[59:60], v[57:58], v[54:55]
	v_add_f64 v[36:37], v[24:25], -v[28:29]
	v_fma_f64 v[2:3], v[52:53], s[0:1], v[2:3]
	v_add_f64 v[24:25], v[28:29], v[24:25]
	ds_write2_b64 v9, v[38:39], v[59:60] offset1:7
	v_add_f64 v[38:39], v[2:3], v[0:1]
	v_add_f64 v[0:1], v[0:1], -v[2:3]
	ds_write2_b64 v9, v[38:39], v[36:37] offset0:14 offset1:21
	ds_write2_b64 v9, v[24:25], v[0:1] offset0:28 offset1:35
	v_add_f64 v[0:1], v[54:55], -v[57:58]
	ds_write_b64 v9, v[0:1] offset:336
	s_clause 0xd
	buffer_load_dword v138, off, s[36:39], 0 offset:392
	buffer_load_dword v139, off, s[36:39], 0 offset:396
	;; [unrolled: 1-line block ×14, first 2 shown]
	v_mul_u32_u24_sdwa v0, v14, v65 dst_sel:DWORD dst_unused:UNUSED_PAD src0_sel:WORD_0 src1_sel:DWORD
	v_lshlrev_b32_sdwa v1, v66, v239 dst_sel:DWORD dst_unused:UNUSED_PAD src0_sel:DWORD src1_sel:BYTE_0
	v_add3_u32 v10, 0, v0, v1
	v_add_f64 v[0:1], v[124:125], v[130:131]
	s_waitcnt vmcnt(12)
	v_add_f64 v[2:3], v[138:139], v[112:113]
	s_waitcnt vmcnt(10)
	;; [unrolled: 2-line block ×3, first 2 shown]
	v_add_f64 v[38:39], v[96:97], -v[94:95]
	s_waitcnt vmcnt(4)
	v_add_f64 v[44:45], v[102:103], -v[100:101]
	s_waitcnt vmcnt(0)
	v_add_f64 v[46:47], v[106:107], -v[200:201]
	v_add_f64 v[28:29], v[2:3], v[0:1]
	v_add_f64 v[36:37], v[0:1], -v[24:25]
	v_add_f64 v[0:1], v[2:3], -v[0:1]
	;; [unrolled: 1-line block ×3, first 2 shown]
	v_add_f64 v[48:49], v[44:45], v[38:39]
	v_add_f64 v[44:45], v[46:47], -v[44:45]
	v_add_f64 v[28:29], v[24:25], v[28:29]
	v_add_f64 v[24:25], v[24:25], -v[2:3]
	v_mul_f64 v[36:37], v[36:37], s[4:5]
	v_add_f64 v[2:3], v[38:39], -v[46:47]
	v_mul_f64 v[50:51], v[50:51], s[14:15]
	v_add_f64 v[48:49], v[48:49], v[46:47]
	v_add_f64 v[16:17], v[11:12], v[28:29]
	v_fma_f64 v[52:53], v[24:25], s[16:17], v[36:37]
	v_fma_f64 v[54:55], v[44:45], s[8:9], v[50:51]
	;; [unrolled: 1-line block ×4, first 2 shown]
	v_add_f64 v[52:53], v[52:53], v[28:29]
	v_add_f64 v[57:58], v[54:55], v[52:53]
	ds_write2_b64 v10, v[16:17], v[57:58] offset1:7
	v_mul_f64 v[16:17], v[24:25], s[16:17]
	v_mul_f64 v[24:25], v[2:3], s[18:19]
	v_fma_f64 v[2:3], v[2:3], s[18:19], -v[50:51]
	v_fma_f64 v[16:17], v[0:1], s[20:21], -v[16:17]
	v_fma_f64 v[0:1], v[0:1], s[24:25], -v[36:37]
	v_fma_f64 v[24:25], v[44:45], s[22:23], -v[24:25]
	v_fma_f64 v[2:3], v[48:49], s[0:1], v[2:3]
	v_add_f64 v[16:17], v[16:17], v[28:29]
	v_add_f64 v[0:1], v[0:1], v[28:29]
	v_fma_f64 v[24:25], v[48:49], s[0:1], v[24:25]
	v_add_f64 v[36:37], v[16:17], -v[2:3]
	v_add_f64 v[2:3], v[2:3], v[16:17]
	v_add_f64 v[28:29], v[24:25], v[0:1]
	v_add_f64 v[0:1], v[0:1], -v[24:25]
	ds_write2_b64 v10, v[28:29], v[36:37] offset0:14 offset1:21
	ds_write2_b64 v10, v[2:3], v[0:1] offset0:28 offset1:35
	v_add_f64 v[0:1], v[52:53], -v[54:55]
	v_mov_b32_e32 v55, v27
	v_mov_b32_e32 v54, v26
	ds_write_b64 v10, v[0:1] offset:336
	s_clause 0xb
	buffer_load_dword v104, off, s[36:39], 0 offset:360
	buffer_load_dword v105, off, s[36:39], 0 offset:364
	;; [unrolled: 1-line block ×12, first 2 shown]
	v_mul_u32_u24_sdwa v0, v5, v65 dst_sel:DWORD dst_unused:UNUSED_PAD src0_sel:WORD_0 src1_sel:DWORD
	v_lshlrev_b32_sdwa v1, v66, v56 dst_sel:DWORD dst_unused:UNUSED_PAD src0_sel:DWORD src1_sel:WORD_0
	v_mov_b32_e32 v56, v92
	v_mov_b32_e32 v57, v93
	v_add3_u32 v11, 0, v0, v1
	v_add_f64 v[36:37], v[54:55], -v[56:57]
	s_waitcnt vmcnt(10)
	v_add_f64 v[0:1], v[104:105], v[98:99]
	s_waitcnt vmcnt(8)
	v_add_f64 v[2:3], v[234:235], v[84:85]
	;; [unrolled: 2-line block ×3, first 2 shown]
	v_add_f64 v[84:85], v[234:235], -v[84:85]
	s_waitcnt vmcnt(2)
	v_add_f64 v[28:29], v[34:35], -v[40:41]
	s_waitcnt vmcnt(0)
	v_add_f64 v[38:39], v[26:27], -v[88:89]
	v_add_f64 v[16:17], v[2:3], v[0:1]
	v_add_f64 v[24:25], v[0:1], -v[4:5]
	v_add_f64 v[0:1], v[2:3], -v[0:1]
	;; [unrolled: 1-line block ×3, first 2 shown]
	v_add_f64 v[44:45], v[36:37], v[28:29]
	v_add_f64 v[36:37], v[38:39], -v[36:37]
	v_add_f64 v[16:17], v[4:5], v[16:17]
	v_add_f64 v[4:5], v[4:5], -v[2:3]
	v_mul_f64 v[24:25], v[24:25], s[4:5]
	v_mul_f64 v[46:47], v[46:47], s[14:15]
	v_add_f64 v[44:45], v[44:45], v[38:39]
	v_add_f64 v[2:3], v[28:29], -v[38:39]
	v_add_f64 v[20:21], v[12:13], v[16:17]
	v_mov_b32_e32 v13, v224
	v_fma_f64 v[48:49], v[4:5], s[16:17], v[24:25]
	v_fma_f64 v[50:51], v[36:37], s[8:9], v[46:47]
	v_mul_f64 v[4:5], v[4:5], s[16:17]
	v_mov_b32_e32 v14, v225
	v_fma_f64 v[16:17], v[16:17], s[6:7], v[20:21]
	v_fma_f64 v[50:51], v[44:45], s[0:1], v[50:51]
	v_fma_f64 v[4:5], v[0:1], s[20:21], -v[4:5]
	v_fma_f64 v[0:1], v[0:1], s[24:25], -v[24:25]
	v_add_f64 v[48:49], v[48:49], v[16:17]
	v_add_f64 v[4:5], v[4:5], v[16:17]
	;; [unrolled: 1-line block ×4, first 2 shown]
	ds_write2_b64 v11, v[20:21], v[52:53] offset1:7
	v_mul_f64 v[20:21], v[2:3], s[18:19]
	v_fma_f64 v[2:3], v[2:3], s[18:19], -v[46:47]
	v_mov_b32_e32 v52, v232
	v_mov_b32_e32 v53, v233
	;; [unrolled: 1-line block ×4, first 2 shown]
	v_fma_f64 v[20:21], v[36:37], s[22:23], -v[20:21]
	v_fma_f64 v[2:3], v[44:45], s[0:1], v[2:3]
	v_fma_f64 v[16:17], v[44:45], s[0:1], v[20:21]
	v_add_f64 v[24:25], v[4:5], -v[2:3]
	v_add_f64 v[2:3], v[2:3], v[4:5]
	v_add_f64 v[20:21], v[16:17], v[0:1]
	v_add_f64 v[0:1], v[0:1], -v[16:17]
	ds_write2_b64 v11, v[20:21], v[24:25] offset0:14 offset1:21
	ds_write2_b64 v11, v[2:3], v[0:1] offset0:28 offset1:35
	v_add_f64 v[0:1], v[48:49], -v[50:51]
	ds_write_b64 v11, v[0:1] offset:336
	v_mul_u32_u24_sdwa v0, v42, v65 dst_sel:DWORD dst_unused:UNUSED_PAD src0_sel:WORD_0 src1_sel:DWORD
	v_lshlrev_b32_sdwa v1, v66, v43 dst_sel:DWORD dst_unused:UNUSED_PAD src0_sel:DWORD src1_sel:WORD_0
	s_clause 0x11
	buffer_load_dword v92, off, s[36:39], 0 offset:464
	buffer_load_dword v93, off, s[36:39], 0 offset:468
	;; [unrolled: 1-line block ×18, first 2 shown]
	v_add3_u32 v12, 0, v0, v1
	s_waitcnt vmcnt(16)
	v_add_f64 v[0:1], v[92:93], v[68:69]
	s_waitcnt vmcnt(14)
	v_add_f64 v[2:3], v[63:64], v[52:53]
	;; [unrolled: 2-line block ×3, first 2 shown]
	s_waitcnt vmcnt(6)
	v_add_f64 v[28:29], v[22:23], -v[232:233]
	s_waitcnt vmcnt(2)
	v_add_f64 v[36:37], v[30:31], -v[32:33]
	s_waitcnt vmcnt(0)
	v_add_f64 v[38:39], v[18:19], -v[13:14]
	v_add_f64 v[16:17], v[2:3], v[0:1]
	v_add_f64 v[20:21], v[0:1], -v[4:5]
	v_add_f64 v[0:1], v[2:3], -v[0:1]
	;; [unrolled: 1-line block ×3, first 2 shown]
	v_add_f64 v[42:43], v[36:37], v[28:29]
	v_add_f64 v[36:37], v[38:39], -v[36:37]
	v_add_f64 v[16:17], v[4:5], v[16:17]
	v_add_f64 v[4:5], v[4:5], -v[2:3]
	v_mul_f64 v[20:21], v[20:21], s[4:5]
	v_add_f64 v[2:3], v[28:29], -v[38:39]
	v_mul_f64 v[44:45], v[44:45], s[14:15]
	v_add_f64 v[42:43], v[42:43], v[38:39]
	v_mov_b32_e32 v28, v223
	v_add_f64 v[24:25], v[24:25], v[16:17]
	v_fma_f64 v[46:47], v[4:5], s[16:17], v[20:21]
	v_mul_f64 v[4:5], v[4:5], s[16:17]
	v_fma_f64 v[48:49], v[36:37], s[8:9], v[44:45]
	v_fma_f64 v[16:17], v[16:17], s[6:7], v[24:25]
	v_fma_f64 v[4:5], v[0:1], s[20:21], -v[4:5]
	v_fma_f64 v[0:1], v[0:1], s[24:25], -v[20:21]
	v_mul_f64 v[20:21], v[2:3], s[18:19]
	v_fma_f64 v[48:49], v[42:43], s[0:1], v[48:49]
	v_fma_f64 v[2:3], v[2:3], s[18:19], -v[44:45]
	v_add_f64 v[46:47], v[46:47], v[16:17]
	v_add_f64 v[4:5], v[4:5], v[16:17]
	;; [unrolled: 1-line block ×3, first 2 shown]
	v_fma_f64 v[20:21], v[36:37], s[22:23], -v[20:21]
	v_fma_f64 v[2:3], v[42:43], s[0:1], v[2:3]
	v_add_f64 v[50:51], v[48:49], v[46:47]
	v_fma_f64 v[16:17], v[42:43], s[0:1], v[20:21]
	ds_write2_b64 v12, v[24:25], v[50:51] offset1:7
	v_add_f64 v[24:25], v[4:5], -v[2:3]
	v_add_f64 v[2:3], v[2:3], v[4:5]
	v_add_f64 v[4:5], v[82:83], -v[249:250]
	v_mov_b32_e32 v50, v242
	v_add_f64 v[20:21], v[16:17], v[0:1]
	v_add_f64 v[0:1], v[0:1], -v[16:17]
	v_mov_b32_e32 v16, v230
	v_mov_b32_e32 v51, v16
	ds_write2_b64 v12, v[20:21], v[24:25] offset0:14 offset1:21
	ds_write2_b64 v12, v[2:3], v[0:1] offset0:28 offset1:35
	v_add_f64 v[0:1], v[46:47], -v[48:49]
	v_add_f64 v[2:3], v[236:237], v[75:76]
	v_mov_b32_e32 v24, v240
	v_add_f64 v[239:240], v[194:195], -v[218:219]
	v_mov_b32_e32 v21, v241
	v_add_f64 v[241:242], v[228:229], -v[6:7]
	v_mov_b32_e32 v25, v244
	v_mov_b32_e32 v20, v222
	ds_write_b64 v12, v[0:1] offset:336
	v_add_f64 v[0:1], v[202:203], v[110:111]
	v_add_f64 v[244:245], v[2:3], -v[202:203]
	v_add_f64 v[6:7], v[4:5], -v[239:240]
	s_waitcnt lgkmcnt(0)
	v_add_f64 v[194:195], v[241:242], -v[4:5]
	s_barrier
	buffer_gl0_inv
	v_add_f64 v[0:1], v[2:3], v[0:1]
	v_add_f64 v[2:3], v[110:111], -v[2:3]
	v_mul_f64 v[248:249], v[6:7], s[14:15]
	v_add_f64 v[110:111], v[202:203], -v[110:111]
	v_mul_f64 v[202:203], v[244:245], s[16:17]
	v_add_f64 v[246:247], v[61:62], v[0:1]
	v_mul_f64 v[250:251], v[2:3], s[4:5]
	v_add_f64 v[2:3], v[4:5], v[239:240]
	ds_read_b64 v[4:5], v221
	s_waitcnt lgkmcnt(0)
	buffer_store_dword v4, off, s[36:39], 0 offset:136 ; 4-byte Folded Spill
	buffer_store_dword v5, off, s[36:39], 0 offset:140 ; 4-byte Folded Spill
	ds_read_b64 v[4:5], v67
	s_waitcnt lgkmcnt(0)
	buffer_store_dword v4, off, s[36:39], 0 offset:124 ; 4-byte Folded Spill
	buffer_store_dword v5, off, s[36:39], 0 offset:128 ; 4-byte Folded Spill
	ds_read_b64 v[4:5], v70
	s_waitcnt lgkmcnt(0)
	buffer_store_dword v4, off, s[36:39], 0 offset:116 ; 4-byte Folded Spill
	buffer_store_dword v5, off, s[36:39], 0 offset:120 ; 4-byte Folded Spill
	ds_read_b64 v[4:5], v71
	s_waitcnt lgkmcnt(0)
	buffer_store_dword v4, off, s[36:39], 0 offset:108 ; 4-byte Folded Spill
	buffer_store_dword v5, off, s[36:39], 0 offset:112 ; 4-byte Folded Spill
	ds_read_b64 v[4:5], v72
	s_waitcnt lgkmcnt(0)
	buffer_store_dword v4, off, s[36:39], 0 offset:100 ; 4-byte Folded Spill
	buffer_store_dword v5, off, s[36:39], 0 offset:104 ; 4-byte Folded Spill
	ds_read_b64 v[4:5], v73
	s_waitcnt lgkmcnt(0)
	buffer_store_dword v4, off, s[36:39], 0 offset:92 ; 4-byte Folded Spill
	buffer_store_dword v5, off, s[36:39], 0 offset:96 ; 4-byte Folded Spill
	ds_read_b64 v[4:5], v74
	s_waitcnt lgkmcnt(0)
	buffer_store_dword v4, off, s[36:39], 0 offset:84 ; 4-byte Folded Spill
	buffer_store_dword v5, off, s[36:39], 0 offset:88 ; 4-byte Folded Spill
	ds_read2_b64 v[80:83], v223 offset0:87 offset1:136
	ds_read2_b64 v[4:7], v222 offset0:125 offset1:174
	s_waitcnt lgkmcnt(0)
	buffer_store_dword v4, off, s[36:39], 0 offset:256 ; 4-byte Folded Spill
	buffer_store_dword v5, off, s[36:39], 0 offset:260 ; 4-byte Folded Spill
	buffer_store_dword v6, off, s[36:39], 0 offset:264 ; 4-byte Folded Spill
	buffer_store_dword v7, off, s[36:39], 0 offset:268 ; 4-byte Folded Spill
	ds_read2_b64 v[76:79], v230 offset0:5 offset1:54
	ds_read2_b64 v[4:7], v179 offset0:43 offset1:92
	s_waitcnt lgkmcnt(0)
	buffer_store_dword v4, off, s[36:39], 0 offset:192 ; 4-byte Folded Spill
	buffer_store_dword v5, off, s[36:39], 0 offset:196 ; 4-byte Folded Spill
	buffer_store_dword v6, off, s[36:39], 0 offset:200 ; 4-byte Folded Spill
	buffer_store_dword v7, off, s[36:39], 0 offset:204 ; 4-byte Folded Spill
	ds_read2_b64 v[72:75], v120 offset0:179 offset1:228
	ds_read2_b64 v[4:7], v178 offset0:89 offset1:138
	s_waitcnt lgkmcnt(0)
	buffer_store_dword v4, off, s[36:39], 0 offset:160 ; 4-byte Folded Spill
	buffer_store_dword v5, off, s[36:39], 0 offset:164 ; 4-byte Folded Spill
	buffer_store_dword v6, off, s[36:39], 0 offset:168 ; 4-byte Folded Spill
	buffer_store_dword v7, off, s[36:39], 0 offset:172 ; 4-byte Folded Spill
	ds_read2_b64 v[4:7], v220 offset0:95 offset1:144
	s_waitcnt lgkmcnt(0)
	buffer_store_dword v4, off, s[36:39], 0 offset:272 ; 4-byte Folded Spill
	buffer_store_dword v5, off, s[36:39], 0 offset:276 ; 4-byte Folded Spill
	buffer_store_dword v6, off, s[36:39], 0 offset:280 ; 4-byte Folded Spill
	buffer_store_dword v7, off, s[36:39], 0 offset:284 ; 4-byte Folded Spill
	ds_read2_b64 v[4:7], v179 offset0:141 offset1:190
	s_waitcnt lgkmcnt(0)
	buffer_store_dword v4, off, s[36:39], 0 offset:224 ; 4-byte Folded Spill
	buffer_store_dword v5, off, s[36:39], 0 offset:228 ; 4-byte Folded Spill
	buffer_store_dword v6, off, s[36:39], 0 offset:232 ; 4-byte Folded Spill
	buffer_store_dword v7, off, s[36:39], 0 offset:236 ; 4-byte Folded Spill
	;; [unrolled: 6-line block ×3, first 2 shown]
	buffer_load_dword v17, off, s[36:39], 0 offset:8 ; 4-byte Folded Reload
	ds_read2_b64 v[4:7], v223 offset0:185 offset1:234
	ds_read2_b64 v[42:45], v230 offset0:103 offset1:152
	;; [unrolled: 1-line block ×3, first 2 shown]
	v_add_f64 v[228:229], v[2:3], v[241:242]
	v_fma_f64 v[236:237], v[0:1], s[6:7], v[246:247]
	v_fma_f64 v[0:1], v[244:245], s[16:17], v[250:251]
	;; [unrolled: 1-line block ×3, first 2 shown]
	v_fma_f64 v[202:203], v[110:111], s[20:21], -v[202:203]
	v_fma_f64 v[110:111], v[110:111], s[24:25], -v[250:251]
	v_mov_b32_e32 v230, v217
	v_mov_b32_e32 v71, v216
	s_waitcnt vmcnt(0)
	ds_read2_b64 v[46:49], v17 offset0:65 offset1:114
	ds_read2_b64 v[218:221], v216 offset0:111 offset1:160
	;; [unrolled: 1-line block ×3, first 2 shown]
	s_waitcnt lgkmcnt(0)
	buffer_store_dword v223, off, s[36:39], 0 offset:336 ; 4-byte Folded Spill
	buffer_store_dword v224, off, s[36:39], 0 offset:340 ; 4-byte Folded Spill
	buffer_store_dword v225, off, s[36:39], 0 offset:344 ; 4-byte Folded Spill
	buffer_store_dword v226, off, s[36:39], 0 offset:348 ; 4-byte Folded Spill
	ds_read2_b64 v[223:226], v222 offset0:27 offset1:76
	s_waitcnt lgkmcnt(0)
	buffer_store_dword v223, off, s[36:39], 0 offset:320 ; 4-byte Folded Spill
	buffer_store_dword v224, off, s[36:39], 0 offset:324 ; 4-byte Folded Spill
	buffer_store_dword v225, off, s[36:39], 0 offset:328 ; 4-byte Folded Spill
	buffer_store_dword v226, off, s[36:39], 0 offset:332 ; 4-byte Folded Spill
	ds_read2_b64 v[222:225], v16 offset0:201 offset1:250
	;; [unrolled: 6-line block ×4, first 2 shown]
	v_add_f64 v[0:1], v[0:1], v[236:237]
	v_fma_f64 v[2:3], v[228:229], s[0:1], v[2:3]
	s_waitcnt lgkmcnt(0)
	buffer_store_dword v222, off, s[36:39], 0 offset:240 ; 4-byte Folded Spill
	buffer_store_dword v223, off, s[36:39], 0 offset:244 ; 4-byte Folded Spill
	buffer_store_dword v224, off, s[36:39], 0 offset:248 ; 4-byte Folded Spill
	buffer_store_dword v225, off, s[36:39], 0 offset:252 ; 4-byte Folded Spill
	ds_read2_b64 v[222:225], v120 offset0:81 offset1:130
	s_waitcnt lgkmcnt(0)
	buffer_store_dword v222, off, s[36:39], 0 offset:208 ; 4-byte Folded Spill
	buffer_store_dword v223, off, s[36:39], 0 offset:212 ; 4-byte Folded Spill
	;; [unrolled: 1-line block ×4, first 2 shown]
	v_mov_b32_e32 v16, v120
	ds_read2_b64 v[222:225], v121 offset0:127 offset1:176
	v_add_f64 v[120:121], v[0:1], -v[2:3]
	s_waitcnt lgkmcnt(0)
	buffer_store_dword v222, off, s[36:39], 0 offset:144 ; 4-byte Folded Spill
	buffer_store_dword v223, off, s[36:39], 0 offset:148 ; 4-byte Folded Spill
	;; [unrolled: 1-line block ×4, first 2 shown]
	s_waitcnt_vscnt null, 0x0
	s_barrier
	buffer_gl0_inv
	ds_write2_b64 v243, v[246:247], v[120:121] offset1:7
	v_add_f64 v[120:121], v[239:240], -v[241:242]
	v_add_f64 v[110:111], v[110:111], v[236:237]
	v_add_f64 v[0:1], v[2:3], v[0:1]
	;; [unrolled: 1-line block ×3, first 2 shown]
	v_add_f64 v[150:151], v[208:209], -v[190:191]
	buffer_store_dword v15, off, s[36:39], 0 offset:464 ; 4-byte Folded Spill
	v_mov_b32_e32 v247, v25
	v_mov_b32_e32 v241, v71
	v_fma_f64 v[239:240], v[120:121], s[18:19], -v[248:249]
	v_mul_f64 v[120:121], v[120:121], s[18:19]
	ds_write_b64 v243, v[0:1] offset:336
	v_add_f64 v[0:1], v[184:185], v[144:145]
	v_add_f64 v[144:145], v[182:183], -v[186:187]
	v_fma_f64 v[120:121], v[194:195], s[22:23], -v[120:121]
	v_add_f64 v[194:195], v[202:203], v[236:237]
	v_fma_f64 v[202:203], v[228:229], s[0:1], v[239:240]
	v_add_f64 v[156:157], v[2:3], v[0:1]
	v_fma_f64 v[120:121], v[228:229], s[0:1], v[120:121]
	v_add_f64 v[228:229], v[202:203], v[194:195]
	v_add_f64 v[194:195], v[194:195], -v[202:203]
	v_add_f64 v[236:237], v[110:111], -v[120:121]
	v_add_f64 v[110:111], v[120:121], v[110:111]
	v_add_f64 v[120:121], v[170:171], v[168:169]
	ds_write2_b64 v243, v[236:237], v[228:229] offset0:14 offset1:21
	ds_write2_b64 v243, v[194:195], v[110:111] offset0:28 offset1:35
	v_add_f64 v[110:111], v[176:177], -v[180:181]
	v_add_f64 v[156:157], v[120:121], v[156:157]
	v_add_f64 v[168:169], v[120:121], -v[2:3]
	v_add_f64 v[120:121], v[0:1], -v[120:121]
	;; [unrolled: 1-line block ×4, first 2 shown]
	v_add_f64 v[194:195], v[144:145], v[110:111]
	v_add_f64 v[110:111], v[110:111], -v[150:151]
	v_mul_f64 v[120:121], v[120:121], s[4:5]
	v_mul_f64 v[2:3], v[168:169], s[16:17]
	v_add_f64 v[182:183], v[204:205], v[156:157]
	v_add_f64 v[144:145], v[150:151], -v[144:145]
	v_mul_f64 v[190:191], v[190:191], s[14:15]
	v_add_f64 v[194:195], v[194:195], v[150:151]
	v_fma_f64 v[202:203], v[168:169], s[16:17], v[120:121]
	v_fma_f64 v[2:3], v[0:1], s[20:21], -v[2:3]
	v_fma_f64 v[0:1], v[0:1], s[24:25], -v[120:121]
	v_fma_f64 v[156:157], v[156:157], s[6:7], v[182:183]
	v_fma_f64 v[120:121], v[110:111], s[18:19], -v[190:191]
	v_mul_f64 v[110:111], v[110:111], s[18:19]
	v_fma_f64 v[204:205], v[144:145], s[8:9], v[190:191]
	v_add_f64 v[2:3], v[2:3], v[156:157]
	v_add_f64 v[0:1], v[0:1], v[156:157]
	;; [unrolled: 1-line block ×3, first 2 shown]
	v_fma_f64 v[120:121], v[194:195], s[0:1], v[120:121]
	v_fma_f64 v[110:111], v[144:145], s[22:23], -v[110:111]
	v_fma_f64 v[204:205], v[194:195], s[0:1], v[204:205]
	v_add_f64 v[144:145], v[120:121], v[2:3]
	v_fma_f64 v[110:111], v[194:195], s[0:1], v[110:111]
	v_add_f64 v[2:3], v[2:3], -v[120:121]
	v_add_f64 v[120:121], v[206:207], -v[164:165]
	v_add_f64 v[208:209], v[202:203], -v[204:205]
	v_add_f64 v[150:151], v[0:1], -v[110:111]
	v_add_f64 v[0:1], v[110:111], v[0:1]
	v_add_f64 v[110:111], v[142:143], v[158:159]
	ds_write2_b64 v238, v[182:183], v[208:209] offset1:7
	ds_write2_b64 v238, v[150:151], v[144:145] offset0:14 offset1:21
	ds_write2_b64 v238, v[2:3], v[0:1] offset0:28 offset1:35
	v_add_f64 v[0:1], v[204:205], v[202:203]
	v_add_f64 v[2:3], v[154:155], v[152:153]
	ds_write_b64 v238, v[0:1] offset:336
	v_add_f64 v[0:1], v[126:127], v[134:135]
	v_add_f64 v[126:127], v[166:167], -v[162:163]
	v_add_f64 v[134:135], v[172:173], -v[174:175]
	v_add_f64 v[142:143], v[2:3], v[0:1]
	v_add_f64 v[144:145], v[0:1], -v[110:111]
	v_add_f64 v[156:157], v[126:127], -v[120:121]
	v_add_f64 v[0:1], v[2:3], -v[0:1]
	v_add_f64 v[152:153], v[126:127], v[120:121]
	v_add_f64 v[126:127], v[134:135], -v[126:127]
	v_add_f64 v[142:143], v[110:111], v[142:143]
	v_add_f64 v[110:111], v[110:111], -v[2:3]
	v_mul_f64 v[144:145], v[144:145], s[4:5]
	v_mul_f64 v[156:157], v[156:157], s[14:15]
	v_add_f64 v[2:3], v[120:121], -v[134:135]
	v_add_f64 v[152:153], v[152:153], v[134:135]
	v_add_f64 v[150:151], v[254:255], v[142:143]
	v_fma_f64 v[158:159], v[110:111], s[16:17], v[144:145]
	v_mul_f64 v[110:111], v[110:111], s[16:17]
	v_fma_f64 v[120:121], v[2:3], s[18:19], -v[156:157]
	v_mul_f64 v[2:3], v[2:3], s[18:19]
	v_fma_f64 v[168:169], v[126:127], s[8:9], v[156:157]
	v_fma_f64 v[142:143], v[142:143], s[6:7], v[150:151]
	v_fma_f64 v[110:111], v[0:1], s[20:21], -v[110:111]
	v_fma_f64 v[0:1], v[0:1], s[24:25], -v[144:145]
	;; [unrolled: 1-line block ×3, first 2 shown]
	v_fma_f64 v[120:121], v[152:153], s[0:1], v[120:121]
	v_fma_f64 v[168:169], v[152:153], s[0:1], v[168:169]
	v_add_f64 v[158:159], v[158:159], v[142:143]
	v_add_f64 v[110:111], v[110:111], v[142:143]
	;; [unrolled: 1-line block ×3, first 2 shown]
	v_fma_f64 v[2:3], v[152:153], s[0:1], v[2:3]
	v_add_f64 v[170:171], v[158:159], -v[168:169]
	v_add_f64 v[126:127], v[120:121], v[110:111]
	v_add_f64 v[110:111], v[110:111], -v[120:121]
	v_add_f64 v[134:135], v[0:1], -v[2:3]
	v_add_f64 v[0:1], v[2:3], v[0:1]
	v_add_f64 v[2:3], v[128:129], v[148:149]
	v_add_f64 v[120:121], v[146:147], -v[188:189]
	ds_write2_b64 v8, v[150:151], v[170:171] offset1:7
	ds_write2_b64 v8, v[134:135], v[126:127] offset0:14 offset1:21
	ds_write2_b64 v8, v[110:111], v[0:1] offset0:28 offset1:35
	v_add_f64 v[0:1], v[168:169], v[158:159]
	v_add_f64 v[110:111], v[136:137], -v[140:141]
	v_add_f64 v[126:127], v[192:193], -v[160:161]
	ds_write_b64 v8, v[0:1] offset:336
	v_add_f64 v[0:1], v[132:133], v[108:109]
	v_add_f64 v[142:143], v[120:121], -v[110:111]
	v_add_f64 v[144:145], v[120:121], v[110:111]
	v_add_f64 v[120:121], v[126:127], -v[120:121]
	;; [unrolled: 2-line block ×3, first 2 shown]
	v_mul_f64 v[142:143], v[142:143], s[14:15]
	v_add_f64 v[0:1], v[2:3], -v[0:1]
	v_add_f64 v[144:145], v[144:145], v[126:127]
	v_add_f64 v[128:129], v[114:115], v[128:129]
	v_add_f64 v[114:115], v[114:115], -v[2:3]
	v_mul_f64 v[134:135], v[134:135], s[4:5]
	v_add_f64 v[2:3], v[110:111], -v[126:127]
	v_fma_f64 v[150:151], v[120:121], s[8:9], v[142:143]
	v_add_f64 v[136:137], v[252:253], v[128:129]
	v_mul_f64 v[110:111], v[114:115], s[16:17]
	v_fma_f64 v[148:149], v[114:115], s[16:17], v[134:135]
	v_fma_f64 v[114:115], v[2:3], s[18:19], -v[142:143]
	v_mul_f64 v[2:3], v[2:3], s[18:19]
	v_fma_f64 v[150:151], v[144:145], s[0:1], v[150:151]
	v_fma_f64 v[128:129], v[128:129], s[6:7], v[136:137]
	v_fma_f64 v[110:111], v[0:1], s[20:21], -v[110:111]
	v_fma_f64 v[0:1], v[0:1], s[24:25], -v[134:135]
	v_fma_f64 v[114:115], v[144:145], s[0:1], v[114:115]
	v_fma_f64 v[2:3], v[120:121], s[22:23], -v[2:3]
	v_add_f64 v[148:149], v[148:149], v[128:129]
	v_add_f64 v[110:111], v[110:111], v[128:129]
	v_add_f64 v[0:1], v[0:1], v[128:129]
	v_fma_f64 v[2:3], v[144:145], s[0:1], v[2:3]
	v_add_f64 v[152:153], v[148:149], -v[150:151]
	v_add_f64 v[120:121], v[114:115], v[110:111]
	v_add_f64 v[110:111], v[110:111], -v[114:115]
	v_add_f64 v[114:115], v[100:101], v[102:103]
	;; [unrolled: 2-line block ×3, first 2 shown]
	v_add_f64 v[2:3], v[96:97], v[94:95]
	v_add_f64 v[102:103], v[86:87], -v[90:91]
	v_add_f64 v[96:97], v[56:57], v[54:55]
	v_add_f64 v[86:87], v[104:105], -v[98:99]
	ds_write2_b64 v9, v[136:137], v[152:153] offset1:7
	ds_write2_b64 v9, v[126:127], v[120:121] offset0:14 offset1:21
	ds_write2_b64 v9, v[110:111], v[0:1] offset0:28 offset1:35
	v_add_f64 v[0:1], v[150:151], v[148:149]
	v_add_f64 v[110:111], v[116:117], -v[122:123]
	v_add_f64 v[116:117], v[124:125], -v[130:131]
	ds_write_b64 v9, v[0:1] offset:336
	v_add_f64 v[0:1], v[106:107], v[200:201]
	v_add_f64 v[106:107], v[138:139], -v[112:113]
	v_mov_b32_e32 v9, v231
	v_add_f64 v[120:121], v[2:3], v[0:1]
	v_add_f64 v[122:123], v[0:1], -v[114:115]
	v_add_f64 v[128:129], v[110:111], -v[106:107]
	v_add_f64 v[126:127], v[110:111], v[106:107]
	v_add_f64 v[110:111], v[116:117], -v[110:111]
	v_add_f64 v[0:1], v[2:3], -v[0:1]
	v_add_f64 v[120:121], v[114:115], v[120:121]
	v_add_f64 v[114:115], v[114:115], -v[2:3]
	v_mul_f64 v[122:123], v[122:123], s[4:5]
	v_mul_f64 v[128:129], v[128:129], s[14:15]
	v_add_f64 v[126:127], v[126:127], v[116:117]
	v_add_f64 v[2:3], v[106:107], -v[116:117]
	v_add_f64 v[112:113], v[210:211], v[120:121]
	v_mul_f64 v[106:107], v[114:115], s[16:17]
	v_fma_f64 v[130:131], v[114:115], s[16:17], v[122:123]
	v_fma_f64 v[134:135], v[110:111], s[8:9], v[128:129]
	;; [unrolled: 1-line block ×3, first 2 shown]
	v_fma_f64 v[106:107], v[0:1], s[20:21], -v[106:107]
	v_fma_f64 v[0:1], v[0:1], s[24:25], -v[122:123]
	v_fma_f64 v[134:135], v[126:127], s[0:1], v[134:135]
	v_add_f64 v[130:131], v[130:131], v[120:121]
	v_add_f64 v[106:107], v[106:107], v[120:121]
	;; [unrolled: 1-line block ×3, first 2 shown]
	v_add_f64 v[136:137], v[130:131], -v[134:135]
	ds_write2_b64 v10, v[112:113], v[136:137] offset1:7
	v_fma_f64 v[112:113], v[2:3], s[18:19], -v[128:129]
	v_mul_f64 v[2:3], v[2:3], s[18:19]
	v_fma_f64 v[2:3], v[110:111], s[22:23], -v[2:3]
	v_fma_f64 v[110:111], v[126:127], s[0:1], v[112:113]
	v_fma_f64 v[2:3], v[126:127], s[0:1], v[2:3]
	v_add_f64 v[112:113], v[110:111], v[106:107]
	v_add_f64 v[106:107], v[106:107], -v[110:111]
	v_add_f64 v[110:111], v[102:103], v[84:85]
	v_add_f64 v[114:115], v[0:1], -v[2:3]
	v_add_f64 v[0:1], v[2:3], v[0:1]
	v_add_f64 v[2:3], v[34:35], v[40:41]
	;; [unrolled: 1-line block ×3, first 2 shown]
	ds_write2_b64 v10, v[114:115], v[112:113] offset0:14 offset1:21
	ds_write2_b64 v10, v[106:107], v[0:1] offset0:28 offset1:35
	v_add_f64 v[0:1], v[134:135], v[130:131]
	v_add_f64 v[112:113], v[102:103], -v[84:85]
	v_add_f64 v[102:103], v[86:87], -v[102:103]
	ds_write_b64 v10, v[0:1] offset:336
	v_add_f64 v[0:1], v[26:27], v[88:89]
	v_mul_f64 v[112:113], v[112:113], s[14:15]
	v_add_f64 v[104:105], v[2:3], v[0:1]
	v_add_f64 v[106:107], v[0:1], -v[96:97]
	v_add_f64 v[0:1], v[2:3], -v[0:1]
	v_fma_f64 v[116:117], v[102:103], s[8:9], v[112:113]
	v_add_f64 v[104:105], v[96:97], v[104:105]
	v_add_f64 v[96:97], v[96:97], -v[2:3]
	v_mul_f64 v[106:107], v[106:107], s[4:5]
	v_add_f64 v[2:3], v[84:85], -v[86:87]
	v_fma_f64 v[116:117], v[110:111], s[0:1], v[116:117]
	v_add_f64 v[90:91], v[212:213], v[104:105]
	v_mul_f64 v[84:85], v[96:97], s[16:17]
	v_fma_f64 v[114:115], v[96:97], s[16:17], v[106:107]
	v_mul_f64 v[86:87], v[2:3], s[18:19]
	v_fma_f64 v[2:3], v[2:3], s[18:19], -v[112:113]
	v_fma_f64 v[104:105], v[104:105], s[6:7], v[90:91]
	v_fma_f64 v[84:85], v[0:1], s[20:21], -v[84:85]
	v_fma_f64 v[0:1], v[0:1], s[24:25], -v[106:107]
	;; [unrolled: 1-line block ×3, first 2 shown]
	v_fma_f64 v[2:3], v[110:111], s[0:1], v[2:3]
	v_add_f64 v[114:115], v[114:115], v[104:105]
	v_add_f64 v[84:85], v[84:85], v[104:105]
	;; [unrolled: 1-line block ×3, first 2 shown]
	v_fma_f64 v[86:87], v[110:111], s[0:1], v[86:87]
	v_add_f64 v[118:119], v[114:115], -v[116:117]
	v_add_f64 v[96:97], v[2:3], v[84:85]
	v_add_f64 v[2:3], v[84:85], -v[2:3]
	v_add_f64 v[84:85], v[63:64], -v[52:53]
	ds_write2_b64 v11, v[90:91], v[118:119] offset1:7
	v_add_f64 v[90:91], v[0:1], -v[86:87]
	v_add_f64 v[0:1], v[86:87], v[0:1]
	v_add_f64 v[86:87], v[58:59], -v[65:66]
	v_mov_b32_e32 v118, v28
	v_mov_b32_e32 v242, v118
	ds_write2_b64 v11, v[90:91], v[96:97] offset0:14 offset1:21
	ds_write2_b64 v11, v[2:3], v[0:1] offset0:28 offset1:35
	v_add_f64 v[0:1], v[116:117], v[114:115]
	v_add_f64 v[2:3], v[22:23], v[232:233]
	v_add_f64 v[90:91], v[92:93], -v[68:69]
	v_add_f64 v[92:93], v[32:33], v[30:31]
	v_add_f64 v[104:105], v[86:87], -v[84:85]
	v_add_f64 v[102:103], v[86:87], v[84:85]
	v_mov_b32_e32 v115, v51
	v_mov_b32_e32 v114, v20
	ds_write_b64 v11, v[0:1] offset:336
	v_add_f64 v[0:1], v[18:19], v[13:14]
	v_add_f64 v[86:87], v[90:91], -v[86:87]
	v_mul_f64 v[104:105], v[104:105], s[14:15]
	v_add_f64 v[102:103], v[102:103], v[90:91]
	v_add_f64 v[94:95], v[2:3], v[0:1]
	v_add_f64 v[96:97], v[0:1], -v[92:93]
	v_add_f64 v[0:1], v[2:3], -v[0:1]
	v_fma_f64 v[108:109], v[86:87], s[8:9], v[104:105]
	v_add_f64 v[94:95], v[92:93], v[94:95]
	v_add_f64 v[92:93], v[92:93], -v[2:3]
	v_mul_f64 v[96:97], v[96:97], s[4:5]
	v_fma_f64 v[108:109], v[102:103], s[0:1], v[108:109]
	v_add_f64 v[2:3], v[84:85], -v[90:91]
	v_add_f64 v[88:89], v[214:215], v[94:95]
	v_mul_f64 v[84:85], v[92:93], s[16:17]
	v_fma_f64 v[106:107], v[92:93], s[16:17], v[96:97]
	v_fma_f64 v[94:95], v[94:95], s[6:7], v[88:89]
	v_fma_f64 v[84:85], v[0:1], s[20:21], -v[84:85]
	v_fma_f64 v[0:1], v[0:1], s[24:25], -v[96:97]
	v_add_f64 v[106:107], v[106:107], v[94:95]
	v_add_f64 v[84:85], v[84:85], v[94:95]
	;; [unrolled: 1-line block ×3, first 2 shown]
	v_add_f64 v[110:111], v[106:107], -v[108:109]
	ds_write2_b64 v12, v[88:89], v[110:111] offset1:7
	v_mul_f64 v[88:89], v[2:3], s[18:19]
	v_fma_f64 v[2:3], v[2:3], s[18:19], -v[104:105]
	v_fma_f64 v[86:87], v[86:87], s[22:23], -v[88:89]
	v_fma_f64 v[2:3], v[102:103], s[0:1], v[2:3]
	v_fma_f64 v[86:87], v[102:103], s[0:1], v[86:87]
	v_add_f64 v[90:91], v[2:3], v[84:85]
	v_add_f64 v[2:3], v[84:85], -v[2:3]
	v_add_f64 v[88:89], v[0:1], -v[86:87]
	v_add_f64 v[0:1], v[86:87], v[0:1]
	ds_write2_b64 v12, v[88:89], v[90:91] offset0:14 offset1:21
	ds_write2_b64 v12, v[2:3], v[0:1] offset0:28 offset1:35
	v_add_f64 v[0:1], v[108:109], v[106:107]
	ds_write_b64 v12, v[0:1] offset:336
	v_mul_u32_u24_e32 v0, 6, v15
	s_waitcnt lgkmcnt(0)
	s_waitcnt_vscnt null, 0x0
	s_barrier
	buffer_gl0_inv
	ds_read2_b64 v[88:91], v28 offset0:87 offset1:136
	v_lshlrev_b32_e32 v8, 4, v0
	s_clause 0x1
	global_load_dwordx4 v[84:87], v8, s[12:13] offset:672
	global_load_dwordx4 v[164:167], v8, s[12:13] offset:688
	s_waitcnt vmcnt(1) lgkmcnt(0)
	v_mul_f64 v[0:1], v[88:89], v[86:87]
	v_mul_f64 v[2:3], v[82:83], v[86:87]
	v_fma_f64 v[18:19], v[80:81], v[84:85], -v[0:1]
	v_mul_f64 v[0:1], v[90:91], v[86:87]
	buffer_store_dword v18, off, s[36:39], 0 offset:376 ; 4-byte Folded Spill
	buffer_store_dword v19, off, s[36:39], 0 offset:380 ; 4-byte Folded Spill
	v_fma_f64 v[245:246], v[82:83], v[84:85], -v[0:1]
	v_mul_f64 v[0:1], v[80:81], v[86:87]
	v_fma_f64 v[154:155], v[88:89], v[84:85], v[0:1]
	buffer_store_dword v154, off, s[36:39], 0 offset:400 ; 4-byte Folded Spill
	buffer_store_dword v155, off, s[36:39], 0 offset:404 ; 4-byte Folded Spill
	v_fma_f64 v[83:84], v[90:91], v[84:85], v[2:3]
	s_clause 0x1
	global_load_dwordx4 v[90:93], v8, s[12:13] offset:704
	global_load_dwordx4 v[168:171], v8, s[12:13] offset:720
	ds_read2_b64 v[94:97], v51 offset0:5 offset1:54
	v_mov_b32_e32 v99, v84
	v_mov_b32_e32 v98, v83
	s_waitcnt vmcnt(1) lgkmcnt(0)
	v_mul_f64 v[0:1], v[94:95], v[92:93]
	v_mul_f64 v[2:3], v[78:79], v[92:93]
	v_fma_f64 v[30:31], v[76:77], v[90:91], -v[0:1]
	v_mul_f64 v[0:1], v[96:97], v[92:93]
	buffer_store_dword v30, off, s[36:39], 0 offset:384 ; 4-byte Folded Spill
	buffer_store_dword v31, off, s[36:39], 0 offset:388 ; 4-byte Folded Spill
	v_fma_f64 v[134:135], v[78:79], v[90:91], -v[0:1]
	v_mul_f64 v[0:1], v[76:77], v[92:93]
	v_fma_f64 v[226:227], v[96:97], v[90:91], v[2:3]
	v_fma_f64 v[156:157], v[94:95], v[90:91], v[0:1]
	buffer_store_dword v156, off, s[36:39], 0 offset:408 ; 4-byte Folded Spill
	buffer_store_dword v157, off, s[36:39], 0 offset:412 ; 4-byte Folded Spill
	s_clause 0x1
	global_load_dwordx4 v[90:93], v8, s[12:13] offset:736
	global_load_dwordx4 v[172:175], v8, s[12:13] offset:752
	ds_read2_b64 v[94:97], v16 offset0:179 offset1:228
	buffer_store_dword v16, off, s[36:39], 0 offset:16 ; 4-byte Folded Spill
	buffer_store_dword v8, off, s[36:39], 0 offset:424 ; 4-byte Folded Spill
	s_waitcnt vmcnt(1) lgkmcnt(0)
	v_mul_f64 v[0:1], v[94:95], v[92:93]
	v_mul_f64 v[2:3], v[74:75], v[92:93]
	v_fma_f64 v[88:89], v[72:73], v[90:91], -v[0:1]
	v_mul_f64 v[0:1], v[96:97], v[92:93]
	buffer_store_dword v88, off, s[36:39], 0 offset:392 ; 4-byte Folded Spill
	buffer_store_dword v89, off, s[36:39], 0 offset:396 ; 4-byte Folded Spill
	v_fma_f64 v[186:187], v[74:75], v[90:91], -v[0:1]
	v_mul_f64 v[0:1], v[72:73], v[92:93]
	v_fma_f64 v[234:235], v[96:97], v[90:91], v[2:3]
	v_fma_f64 v[130:131], v[94:95], v[90:91], v[0:1]
	buffer_store_dword v130, off, s[36:39], 0 offset:416 ; 4-byte Folded Spill
	buffer_store_dword v131, off, s[36:39], 0 offset:420 ; 4-byte Folded Spill
	buffer_load_dword v0, off, s[36:39], 0 offset:60 ; 4-byte Folded Reload
	ds_read2_b64 v[94:97], v28 offset0:185 offset1:234
	buffer_store_dword v21, off, s[36:39], 0 offset:432 ; 4-byte Folded Spill
	buffer_store_dword v50, off, s[36:39], 0 offset:440 ; 4-byte Folded Spill
	s_waitcnt vmcnt(0)
	v_mul_lo_u16 v0, 0x4f, v0
	v_lshrrev_b16 v0, 8, v0
	v_sub_nc_u16 v1, v21, v0
	v_lshrrev_b16 v1, 1, v1
	v_and_b32_e32 v1, 0x7f, v1
	v_add_nc_u16 v0, v1, v0
	v_lshrrev_b16 v0, 5, v0
	v_mul_lo_u16 v0, v0, 49
	v_sub_nc_u16 v0, v21, v0
	v_and_b32_e32 v184, 0xff, v0
	v_mul_u32_u24_e32 v0, 6, v184
	v_lshl_add_u32 v202, v184, 3, 0
	v_lshlrev_b32_e32 v2, 4, v0
	v_add_nc_u32_e32 v138, 0x1000, v202
	v_add_nc_u32_e32 v139, 0x1800, v202
	s_clause 0x1
	global_load_dwordx4 v[90:93], v2, s[12:13] offset:672
	global_load_dwordx4 v[210:213], v2, s[12:13] offset:688
	s_waitcnt vmcnt(1) lgkmcnt(0)
	v_mul_f64 v[0:1], v[94:95], v[92:93]
	v_fma_f64 v[206:207], v[4:5], v[90:91], -v[0:1]
	v_mul_f64 v[0:1], v[4:5], v[92:93]
	v_mov_b32_e32 v4, v230
	v_fma_f64 v[136:137], v[94:95], v[90:91], v[0:1]
	buffer_load_dword v0, off, s[36:39], 0 offset:76 ; 4-byte Folded Reload
	s_waitcnt vmcnt(0)
	v_mul_lo_u16 v0, 0x4f, v0
	v_lshrrev_b16 v0, 8, v0
	v_sub_nc_u16 v1, v50, v0
	v_lshrrev_b16 v1, 1, v1
	v_and_b32_e32 v1, 0x7f, v1
	v_add_nc_u16 v0, v1, v0
	v_lshrrev_b16 v0, 5, v0
	v_mul_lo_u16 v0, v0, 49
	v_sub_nc_u16 v0, v50, v0
	v_and_b32_e32 v240, 0xff, v0
	v_mul_u32_u24_e32 v0, 6, v240
	v_lshl_add_u32 v203, v240, 3, 0
	v_lshlrev_b32_e32 v3, 4, v0
	s_clause 0x2
	global_load_dwordx4 v[90:93], v3, s[12:13] offset:672
	global_load_dwordx4 v[110:113], v3, s[12:13] offset:688
	;; [unrolled: 1-line block ×3, first 2 shown]
	s_waitcnt vmcnt(2)
	v_mul_f64 v[0:1], v[96:97], v[92:93]
	v_fma_f64 v[190:191], v[6:7], v[90:91], -v[0:1]
	v_mul_f64 v[0:1], v[6:7], v[92:93]
	v_fma_f64 v[152:153], v[96:97], v[90:91], v[0:1]
	global_load_dwordx4 v[90:93], v2, s[12:13] offset:704
	ds_read2_b64 v[94:97], v51 offset0:103 offset1:152
	s_waitcnt vmcnt(0) lgkmcnt(0)
	v_mul_f64 v[0:1], v[94:95], v[92:93]
	v_fma_f64 v[104:105], v[42:43], v[90:91], -v[0:1]
	v_mul_f64 v[0:1], v[42:43], v[92:93]
	v_fma_f64 v[128:129], v[94:95], v[90:91], v[0:1]
	s_clause 0x3
	global_load_dwordx4 v[90:93], v3, s[12:13] offset:704
	global_load_dwordx4 v[122:125], v3, s[12:13] offset:720
	global_load_dwordx4 v[64:67], v2, s[12:13] offset:736
	global_load_dwordx4 v[222:225], v2, s[12:13] offset:752
	buffer_store_dword v4, off, s[36:39], 0 offset:48 ; 4-byte Folded Spill
	s_waitcnt vmcnt(3)
	v_mul_f64 v[0:1], v[96:97], v[92:93]
	v_fma_f64 v[144:145], v[44:45], v[90:91], -v[0:1]
	v_mul_f64 v[0:1], v[44:45], v[92:93]
	v_fma_f64 v[142:143], v[96:97], v[90:91], v[0:1]
	ds_read2_b64 v[90:93], v230 offset0:21 offset1:70
	s_waitcnt vmcnt(1) lgkmcnt(0)
	v_mul_f64 v[0:1], v[90:91], v[66:67]
	v_fma_f64 v[208:209], v[36:37], v[64:65], -v[0:1]
	v_mul_f64 v[0:1], v[36:37], v[66:67]
	v_fma_f64 v[126:127], v[90:91], v[64:65], v[0:1]
	s_clause 0x1
	global_load_dwordx4 v[64:67], v3, s[12:13] offset:736
	global_load_dwordx4 v[94:97], v3, s[12:13] offset:752
	ds_read2_b64 v[60:63], v17 offset0:65 offset1:114
	buffer_load_dword v2, off, s[36:39], 0 offset:56 ; 4-byte Folded Reload
	s_waitcnt vmcnt(2)
	v_mul_f64 v[0:1], v[92:93], v[66:67]
	v_fma_f64 v[243:244], v[38:39], v[64:65], -v[0:1]
	v_mul_f64 v[0:1], v[38:39], v[66:67]
	v_fma_f64 v[132:133], v[92:93], v[64:65], v[0:1]
	s_waitcnt lgkmcnt(0)
	v_mul_f64 v[0:1], v[60:61], v[112:113]
	v_fma_f64 v[108:109], v[46:47], v[110:111], -v[0:1]
	v_mul_f64 v[0:1], v[46:47], v[112:113]
	v_fma_f64 v[102:103], v[60:61], v[110:111], v[0:1]
	buffer_load_dword v0, off, s[36:39], 0 offset:68 ; 4-byte Folded Reload
	v_mov_b32_e32 v113, v103
	v_mov_b32_e32 v112, v102
	s_waitcnt vmcnt(0)
	v_mul_lo_u16 v0, 0x4f, v0
	v_lshrrev_b16 v0, 8, v0
	v_sub_nc_u16 v1, v2, v0
	v_lshrrev_b16 v1, 1, v1
	v_and_b32_e32 v1, 0x7f, v1
	v_add_nc_u16 v0, v1, v0
	v_lshrrev_b16 v0, 5, v0
	v_mul_lo_u16 v0, v0, 49
	v_sub_nc_u16 v0, v2, v0
	v_and_b32_e32 v56, 0xff, v0
	v_mul_u32_u24_e32 v0, 6, v56
	v_lshl_add_u32 v205, v56, 3, 0
	v_lshlrev_b32_e32 v2, 4, v0
	s_clause 0x1
	global_load_dwordx4 v[64:67], v2, s[12:13] offset:688
	global_load_dwordx4 v[148:151], v2, s[12:13] offset:672
	v_add_nc_u32_e32 v160, 0x3000, v205
	s_waitcnt vmcnt(1)
	v_mul_f64 v[0:1], v[62:63], v[66:67]
	v_fma_f64 v[0:1], v[48:49], v[64:65], -v[0:1]
	buffer_store_dword v0, off, s[36:39], 0 offset:360 ; 4-byte Folded Spill
	buffer_store_dword v1, off, s[36:39], 0 offset:364 ; 4-byte Folded Spill
	v_mul_f64 v[0:1], v[48:49], v[66:67]
	v_fma_f64 v[0:1], v[62:63], v[64:65], v[0:1]
	buffer_store_dword v0, off, s[36:39], 0 offset:352 ; 4-byte Folded Spill
	buffer_store_dword v1, off, s[36:39], 0 offset:356 ; 4-byte Folded Spill
	ds_read2_b64 v[57:60], v71 offset0:111 offset1:160
	s_clause 0x1
	global_load_dwordx4 v[61:64], v2, s[12:13] offset:720
	global_load_dwordx4 v[180:183], v2, s[12:13] offset:704
	s_waitcnt lgkmcnt(0)
	v_mul_f64 v[0:1], v[57:58], v[124:125]
	v_fma_f64 v[67:68], v[218:219], v[122:123], -v[0:1]
	v_mul_f64 v[0:1], v[218:219], v[124:125]
	v_fma_f64 v[106:107], v[57:58], v[122:123], v[0:1]
	s_waitcnt vmcnt(1)
	v_mul_f64 v[0:1], v[59:60], v[63:64]
	v_fma_f64 v[0:1], v[220:221], v[61:62], -v[0:1]
	buffer_store_dword v0, off, s[36:39], 0 offset:368 ; 4-byte Folded Spill
	buffer_store_dword v1, off, s[36:39], 0 offset:372 ; 4-byte Folded Spill
	;; [unrolled: 1-line block ×3, first 2 shown]
	ds_read2_b64 v[52:55], v231 offset0:157 offset1:206
	s_clause 0x3
	buffer_load_dword v5, off, s[36:39], 0 offset:336
	buffer_load_dword v6, off, s[36:39], 0 offset:340
	;; [unrolled: 1-line block ×4, first 2 shown]
	v_mul_f64 v[0:1], v[220:221], v[63:64]
	v_fma_f64 v[219:220], v[59:60], v[61:62], v[0:1]
	s_clause 0x1
	global_load_dwordx4 v[57:60], v2, s[12:13] offset:752
	global_load_dwordx4 v[61:64], v2, s[12:13] offset:736
	s_waitcnt lgkmcnt(0)
	v_mul_f64 v[0:1], v[52:53], v[96:97]
	v_mov_b32_e32 v2, 0x4e5f
	s_waitcnt vmcnt(4)
	v_fma_f64 v[110:111], v[5:6], v[94:95], -v[0:1]
	v_mul_f64 v[0:1], v[5:6], v[96:97]
	v_mov_b32_e32 v185, v111
	v_fma_f64 v[96:97], v[52:53], v[94:95], v[0:1]
	s_waitcnt vmcnt(1)
	v_mul_f64 v[0:1], v[54:55], v[59:60]
	v_mov_b32_e32 v184, v110
	v_mov_b32_e32 v111, v97
	v_fma_f64 v[176:177], v[7:8], v[57:58], -v[0:1]
	v_mul_f64 v[0:1], v[7:8], v[59:60]
	v_mov_b32_e32 v110, v96
	v_fma_f64 v[0:1], v[54:55], v[57:58], v[0:1]
	buffer_store_dword v0, off, s[36:39], 0 offset:336 ; 4-byte Folded Spill
	buffer_store_dword v1, off, s[36:39], 0 offset:340 ; 4-byte Folded Spill
	ds_read2_b64 v[48:51], v20 offset0:27 offset1:76
	s_clause 0x3
	buffer_load_dword v5, off, s[36:39], 0 offset:320
	buffer_load_dword v6, off, s[36:39], 0 offset:324
	;; [unrolled: 1-line block ×4, first 2 shown]
	s_waitcnt lgkmcnt(0)
	v_mul_f64 v[0:1], v[48:49], v[150:151]
	s_waitcnt vmcnt(2)
	v_fma_f64 v[158:159], v[5:6], v[148:149], -v[0:1]
	v_mul_f64 v[0:1], v[5:6], v[150:151]
	v_fma_f64 v[248:249], v[48:49], v[148:149], v[0:1]
	v_mul_u32_u24_sdwa v0, v247, v2 dst_sel:DWORD dst_unused:UNUSED_PAD src0_sel:WORD_0 src1_sel:DWORD
	v_lshrrev_b32_e32 v0, 16, v0
	v_sub_nc_u16 v1, v247, v0
	v_lshrrev_b16 v1, 1, v1
	v_add_nc_u16 v0, v1, v0
	v_lshrrev_b16 v0, 5, v0
	v_mul_lo_u16 v0, v0, 49
	v_sub_nc_u16 v0, v247, v0
	v_and_b32_e32 v44, 0xffff, v0
	v_mul_u32_u24_e32 v0, 6, v44
	v_lshlrev_b32_e32 v3, 4, v0
	s_clause 0x1
	global_load_dwordx4 v[52:55], v3, s[12:13] offset:672
	global_load_dwordx4 v[57:60], v3, s[12:13] offset:688
	s_waitcnt vmcnt(1)
	v_mul_f64 v[0:1], v[50:51], v[54:55]
	v_fma_f64 v[0:1], v[7:8], v[52:53], -v[0:1]
	buffer_store_dword v0, off, s[36:39], 0 offset:68 ; 4-byte Folded Spill
	buffer_store_dword v1, off, s[36:39], 0 offset:72 ; 4-byte Folded Spill
	v_mul_f64 v[0:1], v[7:8], v[54:55]
	v_fma_f64 v[0:1], v[50:51], v[52:53], v[0:1]
	buffer_store_dword v0, off, s[36:39], 0 offset:60 ; 4-byte Folded Spill
	buffer_store_dword v1, off, s[36:39], 0 offset:64 ; 4-byte Folded Spill
	ds_read2_b64 v[45:48], v115 offset0:201 offset1:250
	s_clause 0x3
	buffer_load_dword v5, off, s[36:39], 0 offset:304
	buffer_load_dword v6, off, s[36:39], 0 offset:308
	;; [unrolled: 1-line block ×4, first 2 shown]
	s_clause 0x1
	global_load_dwordx4 v[49:52], v3, s[12:13] offset:704
	global_load_dwordx4 v[230:233], v3, s[12:13] offset:720
	s_waitcnt lgkmcnt(0)
	v_mul_f64 v[0:1], v[45:46], v[182:183]
	s_waitcnt vmcnt(4)
	v_fma_f64 v[148:149], v[5:6], v[180:181], -v[0:1]
	v_mul_f64 v[0:1], v[5:6], v[182:183]
	v_mov_b32_e32 v183, v145
	v_mov_b32_e32 v182, v144
	;; [unrolled: 1-line block ×4, first 2 shown]
	v_fma_f64 v[250:251], v[45:46], v[180:181], v[0:1]
	s_waitcnt vmcnt(1)
	v_mul_f64 v[0:1], v[47:48], v[51:52]
	v_mov_b32_e32 v132, v250
	v_fma_f64 v[0:1], v[7:8], v[49:50], -v[0:1]
	buffer_store_dword v0, off, s[36:39], 0 offset:320 ; 4-byte Folded Spill
	buffer_store_dword v1, off, s[36:39], 0 offset:324 ; 4-byte Folded Spill
	v_mul_f64 v[0:1], v[7:8], v[51:52]
	v_mov_b32_e32 v133, v251
	v_fma_f64 v[0:1], v[47:48], v[49:50], v[0:1]
	buffer_store_dword v0, off, s[36:39], 0 offset:76 ; 4-byte Folded Spill
	buffer_store_dword v1, off, s[36:39], 0 offset:80 ; 4-byte Folded Spill
	ds_read2_b64 v[40:43], v4 offset0:119 offset1:168
	s_clause 0x3
	buffer_load_dword v4, off, s[36:39], 0 offset:288
	buffer_load_dword v5, off, s[36:39], 0 offset:292
	;; [unrolled: 1-line block ×4, first 2 shown]
	s_clause 0x1
	global_load_dwordx4 v[45:48], v3, s[12:13] offset:736
	global_load_dwordx4 v[49:52], v3, s[12:13] offset:752
	s_waitcnt lgkmcnt(0)
	v_mul_f64 v[0:1], v[40:41], v[63:64]
	s_waitcnt vmcnt(4)
	v_fma_f64 v[146:147], v[4:5], v[61:62], -v[0:1]
	v_mul_f64 v[0:1], v[4:5], v[63:64]
	v_fma_f64 v[78:79], v[40:41], v[61:62], v[0:1]
	s_waitcnt vmcnt(1)
	v_mul_f64 v[0:1], v[42:43], v[47:48]
	v_fma_f64 v[61:62], v[6:7], v[45:46], -v[0:1]
	v_mul_f64 v[0:1], v[6:7], v[47:48]
	v_fma_f64 v[0:1], v[42:43], v[45:46], v[0:1]
	buffer_store_dword v0, off, s[36:39], 0 offset:288 ; 4-byte Folded Spill
	buffer_store_dword v1, off, s[36:39], 0 offset:292 ; 4-byte Folded Spill
	buffer_load_dword v80, off, s[36:39], 0 offset:36 ; 4-byte Folded Reload
	s_waitcnt vmcnt(0)
	ds_read2_b64 v[36:39], v80 offset0:95 offset1:144
	s_clause 0x3
	buffer_load_dword v3, off, s[36:39], 0 offset:272
	buffer_load_dword v4, off, s[36:39], 0 offset:276
	;; [unrolled: 1-line block ×4, first 2 shown]
	s_waitcnt lgkmcnt(0)
	v_mul_f64 v[0:1], v[38:39], v[212:213]
	s_waitcnt vmcnt(0)
	v_fma_f64 v[194:195], v[5:6], v[210:211], -v[0:1]
	v_mul_f64 v[0:1], v[5:6], v[212:213]
	v_mov_b32_e32 v213, v207
	v_mov_b32_e32 v212, v206
	;; [unrolled: 1-line block ×4, first 2 shown]
	v_fma_f64 v[92:93], v[38:39], v[210:211], v[0:1]
	v_mul_f64 v[0:1], v[36:37], v[166:167]
	v_fma_f64 v[86:87], v[3:4], v[164:165], -v[0:1]
	v_mul_f64 v[0:1], v[3:4], v[166:167]
	v_fma_f64 v[120:121], v[36:37], v[164:165], v[0:1]
	ds_read2_b64 v[36:39], v20 offset0:125 offset1:174
	s_clause 0x3
	buffer_load_dword v3, off, s[36:39], 0 offset:256
	buffer_load_dword v4, off, s[36:39], 0 offset:260
	;; [unrolled: 1-line block ×4, first 2 shown]
	buffer_store_dword v24, off, s[36:39], 0 offset:304 ; 4-byte Folded Spill
	s_waitcnt lgkmcnt(0)
	v_mul_f64 v[0:1], v[38:39], v[166:167]
	s_waitcnt vmcnt(0)
	v_fma_f64 v[122:123], v[5:6], v[164:165], -v[0:1]
	v_mul_f64 v[0:1], v[5:6], v[166:167]
	v_fma_f64 v[252:253], v[38:39], v[164:165], v[0:1]
	v_mul_u32_u24_sdwa v0, v24, v2 dst_sel:DWORD dst_unused:UNUSED_PAD src0_sel:WORD_0 src1_sel:DWORD
	v_lshrrev_b32_e32 v0, 16, v0
	v_sub_nc_u16 v1, v24, v0
	v_lshrrev_b16 v1, 1, v1
	v_add_nc_u16 v0, v1, v0
	v_lshrrev_b16 v0, 5, v0
	v_mul_lo_u16 v0, v0, 49
	v_sub_nc_u16 v0, v24, v0
	v_and_b32_e32 v72, 0xffff, v0
	v_mul_u32_u24_e32 v0, 6, v72
	v_lshl_add_u32 v204, v72, 3, 0
	v_lshlrev_b32_e32 v2, 4, v0
	s_clause 0x1
	global_load_dwordx4 v[38:41], v2, s[12:13] offset:672
	global_load_dwordx4 v[45:48], v2, s[12:13] offset:688
	s_waitcnt vmcnt(1)
	v_mul_f64 v[0:1], v[36:37], v[40:41]
	v_fma_f64 v[0:1], v[3:4], v[38:39], -v[0:1]
	buffer_store_dword v0, off, s[36:39], 0 offset:272 ; 4-byte Folded Spill
	buffer_store_dword v1, off, s[36:39], 0 offset:276 ; 4-byte Folded Spill
	v_mul_f64 v[0:1], v[3:4], v[40:41]
	v_fma_f64 v[0:1], v[36:37], v[38:39], v[0:1]
	buffer_store_dword v0, off, s[36:39], 0 offset:256 ; 4-byte Folded Spill
	buffer_store_dword v1, off, s[36:39], 0 offset:260 ; 4-byte Folded Spill
	ds_read2_b64 v[24:27], v17 offset0:163 offset1:212
	s_clause 0x3
	buffer_load_dword v3, off, s[36:39], 0 offset:240
	buffer_load_dword v4, off, s[36:39], 0 offset:244
	;; [unrolled: 1-line block ×4, first 2 shown]
	s_waitcnt lgkmcnt(0)
	v_mul_f64 v[0:1], v[24:25], v[59:60]
	s_waitcnt vmcnt(2)
	v_fma_f64 v[200:201], v[3:4], v[57:58], -v[0:1]
	v_mul_f64 v[0:1], v[3:4], v[59:60]
	v_fma_f64 v[76:77], v[24:25], v[57:58], v[0:1]
	v_mul_f64 v[0:1], v[26:27], v[47:48]
	v_mov_b32_e32 v189, v77
	s_waitcnt vmcnt(0)
	v_fma_f64 v[59:60], v[5:6], v[45:46], -v[0:1]
	v_mul_f64 v[0:1], v[5:6], v[47:48]
	v_mov_b32_e32 v188, v76
	v_fma_f64 v[0:1], v[26:27], v[45:46], v[0:1]
	buffer_store_dword v0, off, s[36:39], 0 offset:240 ; 4-byte Folded Spill
	buffer_store_dword v1, off, s[36:39], 0 offset:244 ; 4-byte Folded Spill
	buffer_store_dword v179, off, s[36:39], 0 offset:20 ; 4-byte Folded Spill
	ds_read2_b64 v[24:27], v179 offset0:141 offset1:190
	s_clause 0x3
	buffer_load_dword v3, off, s[36:39], 0 offset:224
	buffer_load_dword v4, off, s[36:39], 0 offset:228
	;; [unrolled: 1-line block ×4, first 2 shown]
	s_waitcnt lgkmcnt(0)
	v_mul_f64 v[0:1], v[26:27], v[216:217]
	s_waitcnt vmcnt(0)
	v_fma_f64 v[192:193], v[5:6], v[214:215], -v[0:1]
	v_mul_f64 v[0:1], v[5:6], v[216:217]
	v_fma_f64 v[90:91], v[26:27], v[214:215], v[0:1]
	v_mul_f64 v[0:1], v[24:25], v[170:171]
	v_fma_f64 v[180:181], v[3:4], v[168:169], -v[0:1]
	v_mul_f64 v[0:1], v[3:4], v[170:171]
	v_fma_f64 v[20:21], v[24:25], v[168:169], v[0:1]
	ds_read2_b64 v[24:27], v179 offset0:43 offset1:92
	s_clause 0x3
	buffer_load_dword v3, off, s[36:39], 0 offset:192
	buffer_load_dword v4, off, s[36:39], 0 offset:196
	buffer_load_dword v5, off, s[36:39], 0 offset:200
	buffer_load_dword v6, off, s[36:39], 0 offset:204
	v_mov_b32_e32 v178, v245
	v_mov_b32_e32 v179, v246
	;; [unrolled: 1-line block ×6, first 2 shown]
	s_waitcnt lgkmcnt(0)
	v_mul_f64 v[0:1], v[26:27], v[170:171]
	s_waitcnt vmcnt(0)
	v_fma_f64 v[254:255], v[5:6], v[168:169], -v[0:1]
	v_mul_f64 v[0:1], v[5:6], v[170:171]
	v_mov_b32_e32 v171, v68
	v_mov_b32_e32 v170, v67
	v_fma_f64 v[164:165], v[26:27], v[168:169], v[0:1]
	s_clause 0x1
	global_load_dwordx4 v[26:29], v2, s[12:13] offset:704
	global_load_dwordx4 v[36:39], v2, s[12:13] offset:720
	ds_read2_b64 v[12:15], v16 offset0:81 offset1:130
	s_waitcnt vmcnt(1)
	v_mul_f64 v[0:1], v[24:25], v[28:29]
	v_fma_f64 v[22:23], v[3:4], v[26:27], -v[0:1]
	v_mul_f64 v[0:1], v[3:4], v[28:29]
	s_clause 0x3
	buffer_load_dword v3, off, s[36:39], 0 offset:208
	buffer_load_dword v4, off, s[36:39], 0 offset:212
	buffer_load_dword v5, off, s[36:39], 0 offset:216
	buffer_load_dword v6, off, s[36:39], 0 offset:220
	v_fma_f64 v[57:58], v[24:25], v[26:27], v[0:1]
	s_waitcnt lgkmcnt(0)
	v_mul_f64 v[0:1], v[12:13], v[232:233]
	v_mov_b32_e32 v68, v58
	v_mov_b32_e32 v67, v57
	s_waitcnt vmcnt(2)
	v_fma_f64 v[69:70], v[3:4], v[230:231], -v[0:1]
	v_mul_f64 v[0:1], v[3:4], v[232:233]
	v_mov_b32_e32 v97, v70
	v_fma_f64 v[161:162], v[12:13], v[230:231], v[0:1]
	v_mul_f64 v[0:1], v[14:15], v[38:39]
	v_mov_b32_e32 v96, v69
	v_mov_b32_e32 v76, v161
	s_waitcnt vmcnt(0)
	v_fma_f64 v[34:35], v[5:6], v[36:37], -v[0:1]
	v_mul_f64 v[0:1], v[5:6], v[38:39]
	v_mov_b32_e32 v77, v162
	v_lshl_add_u32 v161, v44, 3, 0
	v_add_nc_u32_e32 v162, 0x3000, v161
	v_add_nc_u32_e32 v163, 0x3800, v161
	v_mov_b32_e32 v105, v35
	v_fma_f64 v[100:101], v[14:15], v[36:37], v[0:1]
	ds_read2_b64 v[12:15], v9 offset0:59 offset1:108
	s_clause 0x4
	buffer_load_dword v3, off, s[36:39], 0 offset:176
	buffer_load_dword v4, off, s[36:39], 0 offset:180
	;; [unrolled: 1-line block ×5, first 2 shown]
	v_mov_b32_e32 v104, v34
	s_waitcnt lgkmcnt(0)
	v_mul_f64 v[0:1], v[14:15], v[224:225]
	s_waitcnt vmcnt(1)
	v_fma_f64 v[210:211], v[5:6], v[222:223], -v[0:1]
	v_mul_f64 v[0:1], v[5:6], v[224:225]
	v_mov_b32_e32 v225, v135
	v_mov_b32_e32 v224, v134
	v_fma_f64 v[140:141], v[14:15], v[222:223], v[0:1]
	v_mul_f64 v[0:1], v[12:13], v[174:175]
	v_mov_b32_e32 v83, v140
	v_fma_f64 v[10:11], v[3:4], v[172:173], -v[0:1]
	v_mul_f64 v[0:1], v[3:4], v[174:175]
	v_mov_b32_e32 v84, v141
	v_add_nc_u32_e32 v140, 0x2000, v203
	v_add_nc_u32_e32 v141, 0x2800, v205
	v_fma_f64 v[8:9], v[12:13], v[172:173], v[0:1]
	s_waitcnt vmcnt(0)
	ds_read2_b64 v[12:15], v73 offset0:89 offset1:138
	s_clause 0x3
	buffer_load_dword v3, off, s[36:39], 0 offset:160
	buffer_load_dword v4, off, s[36:39], 0 offset:164
	;; [unrolled: 1-line block ×4, first 2 shown]
	s_waitcnt lgkmcnt(0)
	v_mul_f64 v[0:1], v[14:15], v[174:175]
	s_waitcnt vmcnt(0)
	v_fma_f64 v[166:167], v[5:6], v[172:173], -v[0:1]
	v_mul_f64 v[0:1], v[5:6], v[174:175]
	v_mov_b32_e32 v175, v109
	v_mov_b32_e32 v174, v108
	;; [unrolled: 1-line block ×4, first 2 shown]
	v_fma_f64 v[168:169], v[14:15], v[172:173], v[0:1]
	s_clause 0x1
	global_load_dwordx4 v[14:17], v2, s[12:13] offset:736
	global_load_dwordx4 v[24:27], v2, s[12:13] offset:752
	buffer_load_dword v119, off, s[36:39], 0 offset:52 ; 4-byte Folded Reload
	s_waitcnt vmcnt(2)
	v_mul_f64 v[0:1], v[12:13], v[16:17]
	v_fma_f64 v[81:82], v[3:4], v[14:15], -v[0:1]
	v_mul_f64 v[0:1], v[3:4], v[16:17]
	v_fma_f64 v[232:233], v[12:13], v[14:15], v[0:1]
	s_waitcnt vmcnt(0)
	ds_read2_b64 v[0:3], v119 offset0:127 offset1:176
	s_clause 0x3
	buffer_load_dword v4, off, s[36:39], 0 offset:144
	buffer_load_dword v5, off, s[36:39], 0 offset:148
	;; [unrolled: 1-line block ×4, first 2 shown]
	s_waitcnt lgkmcnt(0)
	v_mul_f64 v[12:13], v[0:1], v[51:52]
	v_mov_b32_e32 v32, v232
	v_mov_b32_e32 v33, v233
	s_waitcnt vmcnt(2)
	v_fma_f64 v[124:125], v[4:5], v[49:50], -v[12:13]
	v_mul_f64 v[4:5], v[4:5], v[51:52]
	v_fma_f64 v[65:66], v[0:1], v[49:50], v[4:5]
	v_mul_f64 v[0:1], v[2:3], v[26:27]
	v_add_f64 v[4:5], v[18:19], v[166:167]
	v_add_f64 v[18:19], v[252:253], -v[130:131]
	v_mov_b32_e32 v131, v107
	v_mov_b32_e32 v130, v106
	;; [unrolled: 1-line block ×6, first 2 shown]
	v_add_f64 v[100:101], v[226:227], v[20:21]
	s_waitcnt vmcnt(0)
	v_fma_f64 v[94:95], v[6:7], v[24:25], -v[0:1]
	v_mul_f64 v[0:1], v[6:7], v[26:27]
	v_add_f64 v[6:7], v[122:123], v[88:89]
	v_mov_b32_e32 v88, v136
	v_mov_b32_e32 v89, v137
	;; [unrolled: 1-line block ×7, first 2 shown]
	v_fma_f64 v[238:239], v[2:3], v[24:25], v[0:1]
	v_add_f64 v[0:1], v[30:31], v[254:255]
	v_add_f64 v[2:3], v[6:7], v[4:5]
	v_add_f64 v[24:25], v[154:155], -v[168:169]
	v_mov_b32_e32 v155, v129
	v_mov_b32_e32 v154, v128
	;; [unrolled: 1-line block ×6, first 2 shown]
	v_add_f64 v[14:15], v[4:5], -v[0:1]
	v_add_f64 v[2:3], v[0:1], v[2:3]
	v_add_f64 v[12:13], v[0:1], -v[6:7]
	s_clause 0x8
	buffer_load_dword v0, off, s[36:39], 0 offset:136
	buffer_load_dword v1, off, s[36:39], 0 offset:140
	;; [unrolled: 1-line block ×4, first 2 shown]
	buffer_load_dword v223, off, s[36:39], 0
	buffer_load_dword v64, off, s[36:39], 0 offset:4
	buffer_load_dword v85, off, s[36:39], 0 offset:24
	;; [unrolled: 1-line block ×4, first 2 shown]
	v_add_f64 v[4:5], v[6:7], -v[4:5]
	v_add_f64 v[6:7], v[18:19], -v[24:25]
	v_mov_b32_e32 v23, v239
	v_add_nc_u32_e32 v238, 0x4000, v204
	v_mul_f64 v[14:15], v[14:15], s[4:5]
	s_waitcnt vmcnt(7)
	v_add_f64 v[16:17], v[0:1], v[2:3]
	v_add_f64 v[0:1], v[164:165], -v[156:157]
	s_waitcnt vmcnt(6)
	ds_read_b64 v[172:173], v218
	s_waitcnt vmcnt(5)
	ds_read_b64 v[216:217], v63
	;; [unrolled: 2-line block ×3, first 2 shown]
	v_mov_b32_e32 v157, v127
	s_waitcnt vmcnt(1)
	ds_read_b64 v[236:237], v71
	s_waitcnt vmcnt(0)
	ds_read_b64 v[221:222], v42
	v_mov_b32_e32 v156, v126
	v_mov_b32_e32 v127, v79
	;; [unrolled: 1-line block ×3, first 2 shown]
	v_fma_f64 v[30:31], v[2:3], s[6:7], v[16:17]
	v_add_f64 v[28:29], v[0:1], -v[18:19]
	v_add_f64 v[36:37], v[0:1], v[18:19]
	v_add_f64 v[26:27], v[24:25], -v[0:1]
	v_fma_f64 v[0:1], v[12:13], s[16:17], v[14:15]
	v_mul_f64 v[12:13], v[12:13], s[16:17]
	v_mul_f64 v[28:29], v[28:29], s[14:15]
	v_add_f64 v[36:37], v[36:37], v[24:25]
	v_add_f64 v[24:25], v[98:99], -v[8:9]
	v_add_f64 v[38:39], v[0:1], v[30:31]
	v_fma_f64 v[12:13], v[4:5], s[20:21], -v[12:13]
	v_fma_f64 v[4:5], v[4:5], s[24:25], -v[14:15]
	v_mul_f64 v[14:15], v[6:7], s[18:19]
	v_add_f64 v[98:99], v[98:99], v[8:9]
	v_fma_f64 v[0:1], v[26:27], s[8:9], v[28:29]
	v_fma_f64 v[6:7], v[6:7], s[18:19], -v[28:29]
	v_add_f64 v[12:13], v[12:13], v[30:31]
	v_add_f64 v[4:5], v[4:5], v[30:31]
	v_fma_f64 v[14:15], v[26:27], s[22:23], -v[14:15]
	v_fma_f64 v[40:41], v[36:37], s[0:1], v[0:1]
	v_fma_f64 v[6:7], v[36:37], s[0:1], v[6:7]
	ds_read_b64 v[0:1], v223
	ds_read_b64 v[228:229], v85
	s_waitcnt lgkmcnt(0)
	s_waitcnt_vscnt null, 0x0
	s_barrier
	v_fma_f64 v[14:15], v[36:37], s[0:1], v[14:15]
	buffer_gl0_inv
	v_add_f64 v[45:46], v[40:41], v[38:39]
	v_add_f64 v[18:19], v[12:13], -v[6:7]
	v_add_f64 v[6:7], v[6:7], v[12:13]
	v_add_f64 v[12:13], v[224:225], v[180:181]
	v_add_f64 v[180:181], v[180:181], -v[224:225]
	ds_write2_b64 v218, v[16:17], v[45:46] offset1:49
	v_add_f64 v[16:17], v[14:15], v[4:5]
	v_add_f64 v[4:5], v[4:5], -v[14:15]
	ds_write2_b64 v218, v[16:17], v[18:19] offset0:98 offset1:147
	ds_write2_b64 v218, v[6:7], v[4:5] offset0:196 offset1:245
	s_clause 0x1
	buffer_load_dword v30, off, s[36:39], 0 offset:124
	buffer_load_dword v31, off, s[36:39], 0 offset:128
	v_add_f64 v[4:5], v[178:179], v[10:11]
	v_add_f64 v[6:7], v[86:87], v[186:187]
	v_add_f64 v[18:19], v[20:21], -v[226:227]
	v_add_f64 v[178:179], v[178:179], -v[10:11]
	;; [unrolled: 1-line block ×3, first 2 shown]
	v_add_f64 v[14:15], v[6:7], v[4:5]
	v_add_f64 v[4:5], v[6:7], -v[4:5]
	v_mul_f64 v[16:17], v[16:17], s[4:5]
	v_add_f64 v[14:15], v[12:13], v[14:15]
	v_add_f64 v[12:13], v[12:13], -v[6:7]
	v_add_f64 v[6:7], v[120:121], -v[234:235]
	v_add_f64 v[26:27], v[18:19], v[6:7]
	v_add_f64 v[28:29], v[18:19], -v[6:7]
	v_add_f64 v[6:7], v[6:7], -v[24:25]
	v_add_f64 v[18:19], v[24:25], -v[18:19]
	v_add_f64 v[24:25], v[26:27], v[24:25]
	v_add_f64 v[26:27], v[38:39], -v[40:41]
	s_waitcnt vmcnt(0)
	v_add_f64 v[30:31], v[30:31], v[14:15]
	ds_write2_b64 v118, v[26:27], v[30:31] offset0:38 offset1:87
	v_fma_f64 v[14:15], v[14:15], s[6:7], v[30:31]
	v_mul_f64 v[26:27], v[28:29], s[14:15]
	v_mul_f64 v[30:31], v[6:7], s[18:19]
	v_fma_f64 v[28:29], v[12:13], s[16:17], v[16:17]
	v_mul_f64 v[12:13], v[12:13], s[16:17]
	v_fma_f64 v[16:17], v[4:5], s[24:25], -v[16:17]
	v_fma_f64 v[6:7], v[6:7], s[18:19], -v[26:27]
	;; [unrolled: 1-line block ×3, first 2 shown]
	v_fma_f64 v[18:19], v[18:19], s[8:9], v[26:27]
	v_fma_f64 v[4:5], v[4:5], s[20:21], -v[12:13]
	v_add_f64 v[28:29], v[28:29], v[14:15]
	v_add_f64 v[16:17], v[16:17], v[14:15]
	v_add_f64 v[26:27], v[90:91], -v[154:155]
	v_fma_f64 v[6:7], v[24:25], s[0:1], v[6:7]
	v_fma_f64 v[30:31], v[24:25], s[0:1], v[30:31]
	;; [unrolled: 1-line block ×3, first 2 shown]
	v_add_f64 v[4:5], v[4:5], v[14:15]
	v_add_f64 v[24:25], v[92:93], -v[156:157]
	v_add_f64 v[38:39], v[30:31], v[16:17]
	v_add_f64 v[36:37], v[18:19], v[28:29]
	v_add_f64 v[12:13], v[4:5], -v[6:7]
	v_add_f64 v[4:5], v[6:7], v[4:5]
	v_add_f64 v[6:7], v[28:29], -v[18:19]
	v_add_f64 v[28:29], v[26:27], -v[24:25]
	ds_write2_b64 v118, v[36:37], v[38:39] offset0:136 offset1:185
	v_add_nc_u32_e32 v118, 0xc00, v218
	v_add_f64 v[36:37], v[26:27], v[24:25]
	v_mul_f64 v[28:29], v[28:29], s[14:15]
	ds_write2_b64 v118, v[12:13], v[4:5] offset0:106 offset1:155
	v_add_f64 v[4:5], v[16:17], -v[30:31]
	v_add_f64 v[12:13], v[206:207], v[192:193]
	v_add_f64 v[30:31], v[88:89], -v[83:84]
	ds_write2_b64 v114, v[4:5], v[6:7] offset0:76 offset1:125
	s_clause 0x1
	buffer_load_dword v18, off, s[36:39], 0 offset:116
	buffer_load_dword v19, off, s[36:39], 0 offset:120
	v_add_f64 v[4:5], v[212:213], v[210:211]
	v_add_f64 v[6:7], v[194:195], v[208:209]
	v_add_f64 v[26:27], v[30:31], -v[26:27]
	v_add_f64 v[36:37], v[36:37], v[30:31]
	v_add_f64 v[16:17], v[4:5], -v[12:13]
	;; [unrolled: 2-line block ×3, first 2 shown]
	v_fma_f64 v[40:41], v[26:27], s[8:9], v[28:29]
	v_mul_f64 v[16:17], v[16:17], s[4:5]
	v_add_f64 v[14:15], v[12:13], v[14:15]
	v_add_f64 v[12:13], v[12:13], -v[6:7]
	v_add_f64 v[6:7], v[24:25], -v[30:31]
	v_fma_f64 v[40:41], v[36:37], s[0:1], v[40:41]
	v_add_f64 v[24:25], v[112:113], -v[144:145]
	v_fma_f64 v[38:39], v[12:13], s[16:17], v[16:17]
	v_mul_f64 v[12:13], v[12:13], s[16:17]
	v_fma_f64 v[12:13], v[4:5], s[20:21], -v[12:13]
	v_fma_f64 v[4:5], v[4:5], s[24:25], -v[16:17]
	;; [unrolled: 1-line block ×3, first 2 shown]
	v_mul_f64 v[6:7], v[6:7], s[18:19]
	v_add_f64 v[28:29], v[243:244], -v[110:111]
	v_fma_f64 v[6:7], v[26:27], s[22:23], -v[6:7]
	v_add_f64 v[26:27], v[130:131], -v[142:143]
	v_fma_f64 v[6:7], v[36:37], s[0:1], v[6:7]
	v_add_f64 v[30:31], v[26:27], -v[24:25]
	v_mul_f64 v[30:31], v[30:31], s[14:15]
	s_waitcnt vmcnt(0)
	v_add_f64 v[18:19], v[18:19], v[14:15]
	v_fma_f64 v[14:15], v[14:15], s[6:7], v[18:19]
	v_add_f64 v[38:39], v[38:39], v[14:15]
	v_add_f64 v[12:13], v[12:13], v[14:15]
	;; [unrolled: 1-line block ×3, first 2 shown]
	v_fma_f64 v[14:15], v[36:37], s[0:1], v[16:17]
	v_add_f64 v[36:37], v[26:27], v[24:25]
	v_add_f64 v[26:27], v[28:29], -v[26:27]
	v_add_f64 v[45:46], v[40:41], v[38:39]
	v_add_f64 v[8:9], v[38:39], -v[40:41]
	v_add_f64 v[16:17], v[12:13], -v[14:15]
	v_add_f64 v[12:13], v[14:15], v[12:13]
	v_add_f64 v[36:37], v[36:37], v[28:29]
	v_fma_f64 v[47:48], v[26:27], s[8:9], v[30:31]
	ds_write2_b64 v138, v[18:19], v[45:46] offset0:174 offset1:223
	v_add_f64 v[18:19], v[6:7], v[4:5]
	v_add_f64 v[4:5], v[4:5], -v[6:7]
	v_add_f64 v[6:7], v[174:175], v[245:246]
	v_fma_f64 v[47:48], v[36:37], s[0:1], v[47:48]
	ds_write2_b64 v139, v[18:19], v[16:17] offset0:16 offset1:65
	ds_write2_b64 v139, v[12:13], v[4:5] offset0:114 offset1:163
	s_clause 0x1
	buffer_load_dword v18, off, s[36:39], 0 offset:108
	buffer_load_dword v19, off, s[36:39], 0 offset:112
	v_add_f64 v[4:5], v[190:191], v[184:185]
	v_add_f64 v[12:13], v[182:183], v[170:171]
	;; [unrolled: 1-line block ×3, first 2 shown]
	v_add_f64 v[16:17], v[4:5], -v[12:13]
	v_add_f64 v[4:5], v[6:7], -v[4:5]
	v_add_f64 v[14:15], v[12:13], v[14:15]
	v_add_f64 v[12:13], v[12:13], -v[6:7]
	v_mul_f64 v[16:17], v[16:17], s[4:5]
	v_mul_f64 v[6:7], v[12:13], s[16:17]
	v_fma_f64 v[45:46], v[12:13], s[16:17], v[16:17]
	v_fma_f64 v[6:7], v[4:5], s[20:21], -v[6:7]
	v_fma_f64 v[4:5], v[4:5], s[24:25], -v[16:17]
	s_waitcnt vmcnt(0)
	v_add_f64 v[18:19], v[18:19], v[14:15]
	v_fma_f64 v[14:15], v[14:15], s[6:7], v[18:19]
	v_add_f64 v[45:46], v[45:46], v[14:15]
	v_add_f64 v[6:7], v[6:7], v[14:15]
	;; [unrolled: 1-line block ×4, first 2 shown]
	v_add_f64 v[10:11], v[45:46], -v[47:48]
	ds_write2_b64 v140, v[18:19], v[49:50] offset0:5 offset1:54
	v_add_f64 v[18:19], v[24:25], -v[28:29]
	v_mul_f64 v[12:13], v[18:19], s[18:19]
	v_fma_f64 v[16:17], v[18:19], s[18:19], -v[30:31]
	v_fma_f64 v[12:13], v[26:27], s[22:23], -v[12:13]
	v_fma_f64 v[14:15], v[36:37], s[0:1], v[16:17]
	v_add_f64 v[26:27], v[136:137], -v[132:133]
	v_fma_f64 v[12:13], v[36:37], s[0:1], v[12:13]
	v_add_f64 v[18:19], v[6:7], -v[14:15]
	v_add_f64 v[6:7], v[14:15], v[6:7]
	v_add_f64 v[16:17], v[12:13], v[4:5]
	v_add_f64 v[4:5], v[4:5], -v[12:13]
	ds_write2_b64 v140, v[16:17], v[18:19] offset0:103 offset1:152
	ds_write2_b64 v140, v[6:7], v[4:5] offset0:201 offset1:250
	s_clause 0x9
	buffer_load_dword v152, off, s[36:39], 0 offset:360
	buffer_load_dword v153, off, s[36:39], 0 offset:364
	;; [unrolled: 1-line block ×10, first 2 shown]
	v_add_f64 v[4:5], v[158:159], v[176:177]
	s_waitcnt vmcnt(8)
	v_add_f64 v[6:7], v[152:153], v[146:147]
	s_waitcnt vmcnt(6)
	;; [unrolled: 2-line block ×3, first 2 shown]
	v_add_f64 v[24:25], v[134:135], -v[126:127]
	s_waitcnt vmcnt(0)
	v_add_f64 v[30:31], v[219:220], -v[2:3]
	v_add_f64 v[14:15], v[6:7], v[4:5]
	v_add_f64 v[16:17], v[12:13], -v[6:7]
	v_add_f64 v[28:29], v[26:27], -v[24:25]
	v_add_f64 v[36:37], v[26:27], v[24:25]
	v_add_f64 v[26:27], v[30:31], -v[26:27]
	v_add_f64 v[14:15], v[12:13], v[14:15]
	v_add_f64 v[12:13], v[4:5], -v[12:13]
	v_add_f64 v[4:5], v[6:7], -v[4:5]
	v_mul_f64 v[28:29], v[28:29], s[14:15]
	v_add_f64 v[6:7], v[24:25], -v[30:31]
	v_add_f64 v[36:37], v[36:37], v[30:31]
	v_add_f64 v[18:19], v[18:19], v[14:15]
	v_mul_f64 v[12:13], v[12:13], s[4:5]
	v_fma_f64 v[51:52], v[26:27], s[8:9], v[28:29]
	v_fma_f64 v[14:15], v[14:15], s[6:7], v[18:19]
	;; [unrolled: 1-line block ×3, first 2 shown]
	v_mul_f64 v[16:17], v[16:17], s[16:17]
	v_fma_f64 v[51:52], v[36:37], s[0:1], v[51:52]
	v_add_f64 v[49:50], v[49:50], v[14:15]
	v_fma_f64 v[16:17], v[4:5], s[20:21], -v[16:17]
	v_fma_f64 v[4:5], v[4:5], s[24:25], -v[12:13]
	;; [unrolled: 1-line block ×3, first 2 shown]
	v_mul_f64 v[6:7], v[6:7], s[18:19]
	v_add_f64 v[53:54], v[51:52], v[49:50]
	v_add_f64 v[16:17], v[16:17], v[14:15]
	;; [unrolled: 1-line block ×3, first 2 shown]
	v_fma_f64 v[12:13], v[36:37], s[0:1], v[12:13]
	v_fma_f64 v[6:7], v[26:27], s[22:23], -v[6:7]
	ds_write2_b64 v141, v[18:19], v[53:54] offset0:92 offset1:141
	v_add_f64 v[14:15], v[16:17], -v[12:13]
	v_fma_f64 v[6:7], v[36:37], s[0:1], v[6:7]
	v_add_f64 v[12:13], v[12:13], v[16:17]
	v_add_f64 v[18:19], v[6:7], v[4:5]
	v_add_f64 v[4:5], v[4:5], -v[6:7]
	v_add_f64 v[6:7], v[200:201], v[106:107]
	ds_write2_b64 v141, v[18:19], v[14:15] offset0:190 offset1:239
	ds_write2_b64 v160, v[12:13], v[4:5] offset0:32 offset1:81
	s_clause 0xb
	buffer_load_dword v248, off, s[36:39], 0 offset:68
	buffer_load_dword v249, off, s[36:39], 0 offset:72
	;; [unrolled: 1-line block ×12, first 2 shown]
	s_waitcnt vmcnt(10)
	v_add_f64 v[4:5], v[248:249], v[124:125]
	s_waitcnt vmcnt(8)
	v_add_f64 v[12:13], v[102:103], v[96:97]
	s_waitcnt vmcnt(4)
	v_add_f64 v[24:25], v[188:189], -v[74:75]
	s_waitcnt vmcnt(2)
	v_add_f64 v[26:27], v[76:77], -v[78:79]
	;; [unrolled: 2-line block ×3, first 2 shown]
	v_add_f64 v[14:15], v[6:7], v[4:5]
	v_add_f64 v[16:17], v[4:5], -v[12:13]
	v_add_f64 v[4:5], v[6:7], -v[4:5]
	;; [unrolled: 1-line block ×3, first 2 shown]
	v_add_f64 v[30:31], v[26:27], v[24:25]
	v_add_f64 v[26:27], v[28:29], -v[26:27]
	v_add_f64 v[14:15], v[12:13], v[14:15]
	v_add_f64 v[12:13], v[12:13], -v[6:7]
	v_mul_f64 v[16:17], v[16:17], s[4:5]
	v_add_f64 v[6:7], v[24:25], -v[28:29]
	v_mul_f64 v[36:37], v[36:37], s[14:15]
	v_add_f64 v[30:31], v[30:31], v[28:29]
	v_add_f64 v[18:19], v[18:19], v[14:15]
	v_fma_f64 v[53:54], v[12:13], s[16:17], v[16:17]
	v_mul_f64 v[12:13], v[12:13], s[16:17]
	v_fma_f64 v[55:56], v[26:27], s[8:9], v[36:37]
	v_fma_f64 v[14:15], v[14:15], s[6:7], v[18:19]
	v_fma_f64 v[12:13], v[4:5], s[20:21], -v[12:13]
	v_fma_f64 v[4:5], v[4:5], s[24:25], -v[16:17]
	v_mul_f64 v[16:17], v[6:7], s[18:19]
	v_fma_f64 v[55:56], v[30:31], s[0:1], v[55:56]
	v_fma_f64 v[6:7], v[6:7], s[18:19], -v[36:37]
	v_add_f64 v[53:54], v[53:54], v[14:15]
	v_add_f64 v[12:13], v[12:13], v[14:15]
	;; [unrolled: 1-line block ×3, first 2 shown]
	v_fma_f64 v[16:17], v[26:27], s[22:23], -v[16:17]
	v_add_f64 v[26:27], v[61:62], -v[67:68]
	v_fma_f64 v[6:7], v[30:31], s[0:1], v[6:7]
	v_add_f64 v[43:44], v[55:56], v[53:54]
	v_fma_f64 v[14:15], v[30:31], s[0:1], v[16:17]
	ds_write2_b64 v162, v[18:19], v[43:44] offset0:179 offset1:228
	v_add_f64 v[18:19], v[12:13], -v[6:7]
	v_add_f64 v[6:7], v[6:7], v[12:13]
	v_add_f64 v[12:13], v[108:109], v[104:105]
	;; [unrolled: 1-line block ×3, first 2 shown]
	v_add_f64 v[4:5], v[4:5], -v[14:15]
	ds_write2_b64 v163, v[16:17], v[18:19] offset0:21 offset1:70
	ds_write2_b64 v163, v[6:7], v[4:5] offset0:119 offset1:168
	s_clause 0x7
	buffer_load_dword v250, off, s[36:39], 0 offset:272
	buffer_load_dword v251, off, s[36:39], 0 offset:276
	;; [unrolled: 1-line block ×8, first 2 shown]
	v_add_f64 v[6:7], v[94:95], v[81:82]
	s_waitcnt vmcnt(6)
	v_add_f64 v[4:5], v[250:251], v[116:117]
	s_waitcnt vmcnt(2)
	v_add_f64 v[24:25], v[34:35], -v[32:33]
	s_waitcnt vmcnt(0)
	v_add_f64 v[28:29], v[128:129], -v[22:23]
	v_add_f64 v[14:15], v[6:7], v[4:5]
	v_add_f64 v[16:17], v[4:5], -v[12:13]
	v_add_f64 v[30:31], v[26:27], -v[24:25]
	v_add_f64 v[36:37], v[26:27], v[24:25]
	v_add_f64 v[26:27], v[28:29], -v[26:27]
	v_add_f64 v[4:5], v[6:7], -v[4:5]
	v_add_f64 v[14:15], v[12:13], v[14:15]
	v_add_f64 v[12:13], v[12:13], -v[6:7]
	v_mul_f64 v[16:17], v[16:17], s[4:5]
	v_mul_f64 v[30:31], v[30:31], s[14:15]
	v_add_f64 v[36:37], v[36:37], v[28:29]
	v_add_f64 v[18:19], v[18:19], v[14:15]
	v_mul_f64 v[6:7], v[12:13], s[16:17]
	v_fma_f64 v[43:44], v[12:13], s[16:17], v[16:17]
	v_fma_f64 v[57:58], v[26:27], s[8:9], v[30:31]
	;; [unrolled: 1-line block ×3, first 2 shown]
	v_fma_f64 v[6:7], v[4:5], s[20:21], -v[6:7]
	v_fma_f64 v[4:5], v[4:5], s[24:25], -v[16:17]
	v_fma_f64 v[57:58], v[36:37], s[0:1], v[57:58]
	v_add_f64 v[43:44], v[43:44], v[14:15]
	v_add_f64 v[6:7], v[6:7], v[14:15]
	;; [unrolled: 1-line block ×4, first 2 shown]
	ds_write2_b64 v238, v[18:19], v[59:60] offset0:10 offset1:59
	v_add_f64 v[18:19], v[24:25], -v[28:29]
	v_mul_f64 v[12:13], v[18:19], s[18:19]
	v_fma_f64 v[16:17], v[18:19], s[18:19], -v[30:31]
	v_fma_f64 v[12:13], v[26:27], s[22:23], -v[12:13]
	v_fma_f64 v[14:15], v[36:37], s[0:1], v[16:17]
	v_fma_f64 v[12:13], v[36:37], s[0:1], v[12:13]
	v_add_f64 v[18:19], v[6:7], -v[14:15]
	v_add_f64 v[6:7], v[14:15], v[6:7]
	v_add_f64 v[14:15], v[53:54], -v[55:56]
	v_add_f64 v[16:17], v[12:13], v[4:5]
	v_add_f64 v[4:5], v[4:5], -v[12:13]
	v_add_f64 v[12:13], v[49:50], -v[51:52]
	ds_write2_b64 v238, v[16:17], v[18:19] offset0:108 offset1:157
	v_add_f64 v[16:17], v[43:44], -v[57:58]
	ds_write2_b64 v238, v[6:7], v[4:5] offset0:206 offset1:255
	ds_write_b64 v202, v[8:9] offset:7840
	ds_write_b64 v203, v[10:11] offset:10584
	;; [unrolled: 1-line block ×5, first 2 shown]
	s_waitcnt lgkmcnt(0)
	s_barrier
	buffer_gl0_inv
	ds_read_b64 v[8:9], v42
	s_waitcnt lgkmcnt(0)
	buffer_store_dword v8, off, s[36:39], 0 offset:144 ; 4-byte Folded Spill
	buffer_store_dword v9, off, s[36:39], 0 offset:148 ; 4-byte Folded Spill
	ds_read_b64 v[8:9], v218
	s_waitcnt lgkmcnt(0)
	buffer_store_dword v8, off, s[36:39], 0 offset:92 ; 4-byte Folded Spill
	buffer_store_dword v9, off, s[36:39], 0 offset:96 ; 4-byte Folded Spill
	;; [unrolled: 4-line block ×7, first 2 shown]
	ds_read2_b64 v[8:11], v242 offset0:87 offset1:136
	s_waitcnt lgkmcnt(0)
	buffer_store_dword v8, off, s[36:39], 0 offset:224 ; 4-byte Folded Spill
	buffer_store_dword v9, off, s[36:39], 0 offset:228 ; 4-byte Folded Spill
	buffer_store_dword v10, off, s[36:39], 0 offset:232 ; 4-byte Folded Spill
	buffer_store_dword v11, off, s[36:39], 0 offset:236 ; 4-byte Folded Spill
	ds_read2_b64 v[8:11], v114 offset0:125 offset1:174
	s_waitcnt lgkmcnt(0)
	buffer_store_dword v8, off, s[36:39], 0 offset:208 ; 4-byte Folded Spill
	buffer_store_dword v9, off, s[36:39], 0 offset:212 ; 4-byte Folded Spill
	buffer_store_dword v10, off, s[36:39], 0 offset:216 ; 4-byte Folded Spill
	buffer_store_dword v11, off, s[36:39], 0 offset:220 ; 4-byte Folded Spill
	;; [unrolled: 6-line block ×3, first 2 shown]
	buffer_load_dword v24, off, s[36:39], 0 offset:20 ; 4-byte Folded Reload
	v_add_f64 v[4:5], v[120:121], v[234:235]
	v_add_f64 v[6:7], v[86:87], -v[186:187]
	v_mov_b32_e32 v17, v114
	v_mov_b32_e32 v63, v242
	v_add_f64 v[18:19], v[4:5], v[98:99]
	v_add_f64 v[20:21], v[180:181], -v[6:7]
	v_add_f64 v[232:233], v[100:101], -v[4:5]
	;; [unrolled: 1-line block ×3, first 2 shown]
	v_add_f64 v[6:7], v[180:181], v[6:7]
	v_add_f64 v[4:5], v[4:5], -v[98:99]
	v_add_f64 v[18:19], v[100:101], v[18:19]
	v_mul_f64 v[226:227], v[20:21], s[14:15]
	v_add_f64 v[6:7], v[6:7], v[178:179]
	v_add_f64 v[0:1], v[0:1], v[18:19]
	v_fma_f64 v[20:21], v[230:231], s[18:19], -v[226:227]
	v_fma_f64 v[224:225], v[18:19], s[6:7], v[0:1]
	v_mul_f64 v[18:19], v[232:233], s[16:17]
	v_fma_f64 v[20:21], v[6:7], s[0:1], v[20:21]
	v_fma_f64 v[18:19], v[4:5], s[20:21], -v[18:19]
	v_add_f64 v[18:19], v[18:19], v[224:225]
	v_add_f64 v[234:235], v[20:21], v[18:19]
	v_add_f64 v[239:240], v[18:19], -v[20:21]
	s_waitcnt vmcnt(0)
	ds_read2_b64 v[8:11], v24 offset0:43 offset1:92
	s_waitcnt lgkmcnt(0)
	buffer_store_dword v8, off, s[36:39], 0 offset:176 ; 4-byte Folded Spill
	buffer_store_dword v9, off, s[36:39], 0 offset:180 ; 4-byte Folded Spill
	;; [unrolled: 1-line block ×4, first 2 shown]
	buffer_load_dword v72, off, s[36:39], 0 offset:16 ; 4-byte Folded Reload
	s_waitcnt vmcnt(0)
	ds_read2_b64 v[8:11], v72 offset0:179 offset1:228
	s_waitcnt lgkmcnt(0)
	buffer_store_dword v8, off, s[36:39], 0 offset:192 ; 4-byte Folded Spill
	buffer_store_dword v9, off, s[36:39], 0 offset:196 ; 4-byte Folded Spill
	buffer_store_dword v10, off, s[36:39], 0 offset:200 ; 4-byte Folded Spill
	buffer_store_dword v11, off, s[36:39], 0 offset:204 ; 4-byte Folded Spill
	ds_read2_b64 v[8:11], v73 offset0:89 offset1:138
	s_waitcnt lgkmcnt(0)
	buffer_store_dword v8, off, s[36:39], 0 offset:448 ; 4-byte Folded Spill
	buffer_store_dword v9, off, s[36:39], 0 offset:452 ; 4-byte Folded Spill
	buffer_store_dword v10, off, s[36:39], 0 offset:456 ; 4-byte Folded Spill
	buffer_store_dword v11, off, s[36:39], 0 offset:460 ; 4-byte Folded Spill
	;; [unrolled: 6-line block ×4, first 2 shown]
	buffer_load_dword v56, off, s[36:39], 0 offset:40 ; 4-byte Folded Reload
	s_waitcnt vmcnt(0)
	ds_read2_b64 v[8:11], v56 offset0:59 offset1:108
	s_waitcnt lgkmcnt(0)
	buffer_store_dword v8, off, s[36:39], 0 offset:504 ; 4-byte Folded Spill
	buffer_store_dword v9, off, s[36:39], 0 offset:508 ; 4-byte Folded Spill
	;; [unrolled: 1-line block ×4, first 2 shown]
	ds_read2_b64 v[44:47], v242 offset0:185 offset1:234
	ds_read2_b64 v[8:11], v115 offset0:103 offset1:152
	s_waitcnt lgkmcnt(0)
	buffer_store_dword v8, off, s[36:39], 0 offset:520 ; 4-byte Folded Spill
	buffer_store_dword v9, off, s[36:39], 0 offset:524 ; 4-byte Folded Spill
	;; [unrolled: 1-line block ×4, first 2 shown]
	s_clause 0x1
	buffer_load_dword v64, off, s[36:39], 0 offset:48
	buffer_load_dword v73, off, s[36:39], 0 offset:8
	buffer_store_dword v241, off, s[36:39], 0 offset:84 ; 4-byte Folded Spill
	s_waitcnt vmcnt(1)
	ds_read2_b64 v[40:43], v64 offset0:21 offset1:70
	s_waitcnt vmcnt(0)
	ds_read2_b64 v[52:55], v73 offset0:65 offset1:114
	ds_read2_b64 v[48:51], v241 offset0:111 offset1:160
	;; [unrolled: 1-line block ×4, first 2 shown]
	buffer_store_dword v115, off, s[36:39], 0 offset:12 ; 4-byte Folded Spill
	ds_read2_b64 v[18:21], v115 offset0:201 offset1:250
	ds_read2_b64 v[8:11], v64 offset0:119 offset1:168
	ds_read2_b64 v[12:15], v73 offset0:163 offset1:212
	ds_read2_b64 v[28:31], v72 offset0:81 offset1:130
	ds_read2_b64 v[36:39], v119 offset0:127 offset1:176
	s_waitcnt lgkmcnt(0)
	s_waitcnt_vscnt null, 0x0
	s_barrier
	buffer_gl0_inv
	ds_write2_b64 v118, v[234:235], v[239:240] offset0:106 offset1:155
	s_clause 0x1
	buffer_load_dword v71, off, s[36:39], 0 offset:400
	buffer_load_dword v72, off, s[36:39], 0 offset:404
	s_waitcnt vmcnt(0)
	v_add_f64 v[168:169], v[71:72], v[168:169]
	s_clause 0x1
	buffer_load_dword v71, off, s[36:39], 0 offset:416
	buffer_load_dword v72, off, s[36:39], 0 offset:420
	s_waitcnt vmcnt(0)
	v_add_f64 v[234:235], v[252:253], v[71:72]
	s_clause 0x1
	buffer_load_dword v71, off, s[36:39], 0 offset:392
	buffer_load_dword v72, off, s[36:39], 0 offset:396
	v_add_f64 v[239:240], v[234:235], v[168:169]
	s_waitcnt vmcnt(0)
	v_add_f64 v[86:87], v[122:123], -v[71:72]
	s_clause 0x1
	buffer_load_dword v71, off, s[36:39], 0 offset:408
	buffer_load_dword v72, off, s[36:39], 0 offset:412
	s_waitcnt vmcnt(0)
	v_add_f64 v[114:115], v[71:72], v[164:165]
	s_clause 0x1
	buffer_load_dword v71, off, s[36:39], 0 offset:384
	buffer_load_dword v72, off, s[36:39], 0 offset:388
	v_add_f64 v[239:240], v[114:115], v[239:240]
	v_add_f64 v[241:242], v[168:169], -v[114:115]
	v_add_f64 v[114:115], v[114:115], -v[234:235]
	v_add_f64 v[172:173], v[172:173], v[239:240]
	v_mul_f64 v[241:242], v[241:242], s[4:5]
	v_fma_f64 v[239:240], v[239:240], s[6:7], v[172:173]
	v_fma_f64 v[118:119], v[114:115], s[16:17], v[241:242]
	v_mul_f64 v[114:115], v[114:115], s[16:17]
	v_add_f64 v[118:119], v[118:119], v[239:240]
	s_waitcnt vmcnt(0)
	v_add_f64 v[164:165], v[254:255], -v[71:72]
	s_clause 0x1
	buffer_load_dword v71, off, s[36:39], 0 offset:376
	buffer_load_dword v72, off, s[36:39], 0 offset:380
	v_add_f64 v[254:255], v[164:165], -v[86:87]
	v_add_f64 v[252:253], v[164:165], v[86:87]
	v_mul_f64 v[254:255], v[254:255], s[14:15]
	s_waitcnt vmcnt(0)
	v_add_f64 v[166:167], v[71:72], -v[166:167]
	v_add_f64 v[164:165], v[166:167], -v[164:165]
	v_add_f64 v[252:253], v[252:253], v[166:167]
	v_add_f64 v[86:87], v[86:87], -v[166:167]
	v_fma_f64 v[120:121], v[164:165], s[8:9], v[254:255]
	v_mul_f64 v[166:167], v[86:87], s[18:19]
	v_fma_f64 v[86:87], v[86:87], s[18:19], -v[254:255]
	v_fma_f64 v[120:121], v[252:253], s[0:1], v[120:121]
	v_fma_f64 v[164:165], v[164:165], s[22:23], -v[166:167]
	v_fma_f64 v[86:87], v[252:253], s[0:1], v[86:87]
	v_add_f64 v[122:123], v[118:119], -v[120:121]
	v_fma_f64 v[164:165], v[252:253], s[0:1], v[164:165]
	ds_write2_b64 v218, v[172:173], v[122:123] offset1:49
	v_add_f64 v[122:123], v[234:235], -v[168:169]
	v_mov_b32_e32 v235, v63
	v_mov_b32_e32 v234, v218
	v_fma_f64 v[114:115], v[122:123], s[20:21], -v[114:115]
	v_fma_f64 v[122:123], v[122:123], s[24:25], -v[241:242]
	v_add_f64 v[114:115], v[114:115], v[239:240]
	v_add_f64 v[122:123], v[122:123], v[239:240]
	;; [unrolled: 1-line block ×3, first 2 shown]
	v_add_f64 v[86:87], v[114:115], -v[86:87]
	v_add_f64 v[114:115], v[164:165], v[122:123]
	v_add_f64 v[166:167], v[122:123], -v[164:165]
	ds_write2_b64 v218, v[86:87], v[114:115] offset0:196 offset1:245
	v_add_f64 v[86:87], v[120:121], v[118:119]
	ds_write2_b64 v218, v[166:167], v[168:169] offset0:98 offset1:147
	ds_write2_b64 v63, v[86:87], v[0:1] offset0:38 offset1:87
	v_add_f64 v[0:1], v[98:99], -v[100:101]
	v_add_f64 v[86:87], v[178:179], -v[180:181]
	v_mul_f64 v[0:1], v[0:1], s[4:5]
	v_fma_f64 v[100:101], v[86:87], s[8:9], v[226:227]
	v_fma_f64 v[98:99], v[232:233], s[16:17], v[0:1]
	v_fma_f64 v[0:1], v[4:5], s[24:25], -v[0:1]
	v_mul_f64 v[4:5], v[230:231], s[18:19]
	v_add_f64 v[0:1], v[0:1], v[224:225]
	v_fma_f64 v[4:5], v[86:87], s[22:23], -v[4:5]
	v_add_f64 v[86:87], v[98:99], v[224:225]
	v_fma_f64 v[98:99], v[6:7], s[0:1], v[100:101]
	v_mov_b32_e32 v225, v17
	v_fma_f64 v[4:5], v[6:7], s[0:1], v[4:5]
	v_add_f64 v[6:7], v[86:87], -v[98:99]
	v_add_f64 v[100:101], v[0:1], -v[4:5]
	v_add_f64 v[0:1], v[4:5], v[0:1]
	v_add_f64 v[4:5], v[98:99], v[86:87]
	v_add_f64 v[86:87], v[192:193], -v[206:207]
	ds_write2_b64 v63, v[6:7], v[100:101] offset0:136 offset1:185
	v_add_f64 v[6:7], v[154:155], v[90:91]
	ds_write2_b64 v17, v[0:1], v[4:5] offset0:76 offset1:125
	v_add_f64 v[0:1], v[88:89], v[83:84]
	v_add_f64 v[4:5], v[92:93], v[156:157]
	v_add_f64 v[84:85], v[194:195], -v[208:209]
	v_add_f64 v[88:89], v[212:213], -v[210:211]
	v_add_f64 v[90:91], v[4:5], v[0:1]
	v_add_f64 v[92:93], v[6:7], -v[4:5]
	v_add_f64 v[100:101], v[86:87], -v[84:85]
	;; [unrolled: 3-line block ×3, first 2 shown]
	v_add_f64 v[90:91], v[6:7], v[90:91]
	v_add_f64 v[6:7], v[0:1], -v[6:7]
	v_mul_f64 v[100:101], v[100:101], s[14:15]
	v_add_f64 v[0:1], v[4:5], -v[0:1]
	v_mul_f64 v[4:5], v[92:93], s[16:17]
	v_add_f64 v[114:115], v[114:115], v[88:89]
	v_add_f64 v[98:99], v[228:229], v[90:91]
	v_mul_f64 v[6:7], v[6:7], s[4:5]
	v_fma_f64 v[120:121], v[86:87], s[8:9], v[100:101]
	v_fma_f64 v[4:5], v[0:1], s[20:21], -v[4:5]
	v_fma_f64 v[90:91], v[90:91], s[6:7], v[98:99]
	v_fma_f64 v[118:119], v[92:93], s[16:17], v[6:7]
	v_fma_f64 v[0:1], v[0:1], s[24:25], -v[6:7]
	v_fma_f64 v[6:7], v[84:85], s[18:19], -v[100:101]
	v_mul_f64 v[84:85], v[84:85], s[18:19]
	v_fma_f64 v[120:121], v[114:115], s[0:1], v[120:121]
	v_add_f64 v[4:5], v[4:5], v[90:91]
	v_add_f64 v[118:119], v[118:119], v[90:91]
	;; [unrolled: 1-line block ×3, first 2 shown]
	v_fma_f64 v[6:7], v[114:115], s[0:1], v[6:7]
	v_fma_f64 v[84:85], v[86:87], s[22:23], -v[84:85]
	v_add_f64 v[122:123], v[118:119], -v[120:121]
	v_add_f64 v[86:87], v[6:7], v[4:5]
	v_fma_f64 v[84:85], v[114:115], s[0:1], v[84:85]
	v_add_f64 v[4:5], v[4:5], -v[6:7]
	v_add_f64 v[6:7], v[142:143], v[130:131]
	ds_write2_b64 v138, v[98:99], v[122:123] offset0:174 offset1:223
	v_add_f64 v[88:89], v[0:1], -v[84:85]
	v_add_f64 v[0:1], v[84:85], v[0:1]
	v_add_f64 v[84:85], v[174:175], -v[245:246]
	ds_write2_b64 v139, v[88:89], v[86:87] offset0:16 offset1:65
	ds_write2_b64 v139, v[4:5], v[0:1] offset0:114 offset1:163
	v_add_f64 v[0:1], v[243:244], v[110:111]
	v_add_f64 v[4:5], v[112:113], v[144:145]
	v_add_f64 v[86:87], v[170:171], -v[182:183]
	v_add_f64 v[88:89], v[190:191], -v[184:185]
	;; [unrolled: 1-line block ×3, first 2 shown]
	v_add_f64 v[90:91], v[4:5], v[0:1]
	v_add_f64 v[100:101], v[86:87], -v[84:85]
	v_add_f64 v[112:113], v[86:87], v[84:85]
	v_add_f64 v[84:85], v[84:85], -v[88:89]
	v_add_f64 v[86:87], v[88:89], -v[86:87]
	;; [unrolled: 1-line block ×3, first 2 shown]
	v_mul_f64 v[92:93], v[92:93], s[4:5]
	v_add_f64 v[90:91], v[6:7], v[90:91]
	v_add_f64 v[6:7], v[6:7], -v[4:5]
	v_mul_f64 v[100:101], v[100:101], s[14:15]
	v_add_f64 v[112:113], v[112:113], v[88:89]
	v_add_f64 v[98:99], v[236:237], v[90:91]
	v_fma_f64 v[114:115], v[6:7], s[16:17], v[92:93]
	v_mul_f64 v[4:5], v[6:7], s[16:17]
	v_fma_f64 v[6:7], v[84:85], s[18:19], -v[100:101]
	v_mul_f64 v[84:85], v[84:85], s[18:19]
	v_fma_f64 v[122:123], v[86:87], s[8:9], v[100:101]
	v_fma_f64 v[90:91], v[90:91], s[6:7], v[98:99]
	v_fma_f64 v[4:5], v[0:1], s[20:21], -v[4:5]
	v_fma_f64 v[0:1], v[0:1], s[24:25], -v[92:93]
	;; [unrolled: 1-line block ×3, first 2 shown]
	v_fma_f64 v[6:7], v[112:113], s[0:1], v[6:7]
	v_fma_f64 v[122:123], v[112:113], s[0:1], v[122:123]
	v_add_f64 v[114:115], v[114:115], v[90:91]
	v_add_f64 v[4:5], v[4:5], v[90:91]
	;; [unrolled: 1-line block ×3, first 2 shown]
	v_fma_f64 v[84:85], v[112:113], s[0:1], v[84:85]
	v_add_f64 v[130:131], v[114:115], -v[122:123]
	v_add_f64 v[86:87], v[6:7], v[4:5]
	v_add_f64 v[4:5], v[4:5], -v[6:7]
	v_add_f64 v[88:89], v[0:1], -v[84:85]
	v_add_f64 v[0:1], v[84:85], v[0:1]
	v_add_f64 v[6:7], v[132:133], v[136:137]
	v_add_f64 v[84:85], v[152:153], -v[146:147]
	ds_write2_b64 v140, v[98:99], v[130:131] offset0:5 offset1:54
	ds_write2_b64 v140, v[88:89], v[86:87] offset0:103 offset1:152
	;; [unrolled: 1-line block ×3, first 2 shown]
	v_add_f64 v[0:1], v[219:220], v[2:3]
	v_add_f64 v[4:5], v[134:135], v[126:127]
	v_add_f64 v[86:87], v[150:151], -v[148:149]
	v_add_f64 v[88:89], v[158:159], -v[176:177]
	;; [unrolled: 1-line block ×3, first 2 shown]
	v_add_f64 v[90:91], v[4:5], v[0:1]
	v_add_f64 v[98:99], v[86:87], -v[84:85]
	v_add_f64 v[100:101], v[86:87], v[84:85]
	v_add_f64 v[86:87], v[88:89], -v[86:87]
	v_add_f64 v[0:1], v[4:5], -v[0:1]
	v_mul_f64 v[92:93], v[92:93], s[4:5]
	v_add_f64 v[90:91], v[6:7], v[90:91]
	v_add_f64 v[6:7], v[6:7], -v[4:5]
	v_mul_f64 v[98:99], v[98:99], s[14:15]
	v_add_f64 v[100:101], v[100:101], v[88:89]
	v_add_f64 v[2:3], v[214:215], v[90:91]
	v_fma_f64 v[110:111], v[6:7], s[16:17], v[92:93]
	v_fma_f64 v[112:113], v[86:87], s[8:9], v[98:99]
	v_mul_f64 v[4:5], v[6:7], s[16:17]
	v_fma_f64 v[90:91], v[90:91], s[6:7], v[2:3]
	v_fma_f64 v[112:113], v[100:101], s[0:1], v[112:113]
	v_fma_f64 v[4:5], v[0:1], s[20:21], -v[4:5]
	v_fma_f64 v[0:1], v[0:1], s[24:25], -v[92:93]
	v_add_f64 v[110:111], v[110:111], v[90:91]
	v_add_f64 v[4:5], v[4:5], v[90:91]
	;; [unrolled: 1-line block ×3, first 2 shown]
	v_add_f64 v[126:127], v[110:111], -v[112:113]
	ds_write2_b64 v141, v[2:3], v[126:127] offset0:92 offset1:141
	v_add_f64 v[2:3], v[84:85], -v[88:89]
	v_fma_f64 v[6:7], v[2:3], s[18:19], -v[98:99]
	v_mul_f64 v[2:3], v[2:3], s[18:19]
	v_fma_f64 v[6:7], v[100:101], s[0:1], v[6:7]
	v_fma_f64 v[2:3], v[86:87], s[22:23], -v[2:3]
	v_add_f64 v[84:85], v[6:7], v[4:5]
	v_fma_f64 v[2:3], v[100:101], s[0:1], v[2:3]
	v_add_f64 v[4:5], v[4:5], -v[6:7]
	v_add_f64 v[6:7], v[96:97], -v[102:103]
	;; [unrolled: 1-line block ×3, first 2 shown]
	v_add_f64 v[0:1], v[2:3], v[0:1]
	v_add_f64 v[2:3], v[188:189], v[74:75]
	ds_write2_b64 v141, v[86:87], v[84:85] offset0:190 offset1:239
	ds_write2_b64 v160, v[4:5], v[0:1] offset0:32 offset1:81
	v_add_f64 v[0:1], v[69:70], v[65:66]
	v_add_f64 v[84:85], v[78:79], v[76:77]
	v_add_f64 v[4:5], v[200:201], -v[106:107]
	v_add_f64 v[86:87], v[248:249], -v[124:125]
	v_add_f64 v[88:89], v[2:3], v[0:1]
	v_add_f64 v[90:91], v[0:1], -v[84:85]
	v_add_f64 v[96:97], v[6:7], v[4:5]
	v_add_f64 v[98:99], v[6:7], -v[4:5]
	v_add_f64 v[4:5], v[4:5], -v[86:87]
	;; [unrolled: 1-line block ×4, first 2 shown]
	v_add_f64 v[88:89], v[84:85], v[88:89]
	v_add_f64 v[84:85], v[84:85], -v[2:3]
	v_mul_f64 v[90:91], v[90:91], s[4:5]
	v_mul_f64 v[98:99], v[98:99], s[14:15]
	v_add_f64 v[96:97], v[96:97], v[86:87]
	v_add_f64 v[92:93], v[216:217], v[88:89]
	v_mul_f64 v[2:3], v[84:85], s[16:17]
	v_fma_f64 v[100:101], v[84:85], s[16:17], v[90:91]
	v_mul_f64 v[84:85], v[4:5], s[18:19]
	v_fma_f64 v[102:103], v[6:7], s[8:9], v[98:99]
	v_fma_f64 v[4:5], v[4:5], s[18:19], -v[98:99]
	v_fma_f64 v[88:89], v[88:89], s[6:7], v[92:93]
	v_fma_f64 v[2:3], v[0:1], s[20:21], -v[2:3]
	v_fma_f64 v[0:1], v[0:1], s[24:25], -v[90:91]
	;; [unrolled: 1-line block ×3, first 2 shown]
	v_fma_f64 v[102:103], v[96:97], s[0:1], v[102:103]
	v_fma_f64 v[4:5], v[96:97], s[0:1], v[4:5]
	v_add_f64 v[100:101], v[100:101], v[88:89]
	v_add_f64 v[2:3], v[2:3], v[88:89]
	;; [unrolled: 1-line block ×3, first 2 shown]
	v_fma_f64 v[6:7], v[96:97], s[0:1], v[6:7]
	v_add_f64 v[106:107], v[100:101], -v[102:103]
	v_add_f64 v[86:87], v[4:5], v[2:3]
	v_add_f64 v[2:3], v[2:3], -v[4:5]
	v_add_f64 v[84:85], v[0:1], -v[6:7]
	v_add_f64 v[0:1], v[6:7], v[0:1]
	v_add_f64 v[6:7], v[67:68], v[61:62]
	v_add_f64 v[4:5], v[94:95], -v[81:82]
	ds_write2_b64 v162, v[92:93], v[106:107] offset0:179 offset1:228
	ds_write2_b64 v163, v[84:85], v[86:87] offset0:21 offset1:70
	;; [unrolled: 1-line block ×3, first 2 shown]
	v_add_f64 v[0:1], v[128:129], v[22:23]
	v_add_f64 v[2:3], v[34:35], v[32:33]
	v_add_f64 v[84:85], v[104:105], -v[108:109]
	v_add_f64 v[86:87], v[250:251], -v[116:117]
	;; [unrolled: 1-line block ×3, first 2 shown]
	v_add_f64 v[88:89], v[2:3], v[0:1]
	v_add_f64 v[94:95], v[84:85], -v[4:5]
	v_add_f64 v[96:97], v[84:85], v[4:5]
	v_add_f64 v[4:5], v[4:5], -v[86:87]
	v_add_f64 v[84:85], v[86:87], -v[84:85]
	;; [unrolled: 1-line block ×3, first 2 shown]
	v_mul_f64 v[90:91], v[90:91], s[4:5]
	v_add_f64 v[88:89], v[6:7], v[88:89]
	v_add_f64 v[6:7], v[6:7], -v[2:3]
	v_mul_f64 v[94:95], v[94:95], s[14:15]
	v_add_f64 v[96:97], v[96:97], v[86:87]
	v_add_f64 v[92:93], v[221:222], v[88:89]
	v_fma_f64 v[98:99], v[6:7], s[16:17], v[90:91]
	v_mul_f64 v[2:3], v[6:7], s[16:17]
	v_mul_f64 v[6:7], v[4:5], s[18:19]
	v_fma_f64 v[4:5], v[4:5], s[18:19], -v[94:95]
	v_fma_f64 v[104:105], v[84:85], s[8:9], v[94:95]
	v_fma_f64 v[88:89], v[88:89], s[6:7], v[92:93]
	v_fma_f64 v[2:3], v[0:1], s[20:21], -v[2:3]
	v_fma_f64 v[0:1], v[0:1], s[24:25], -v[90:91]
	;; [unrolled: 1-line block ×3, first 2 shown]
	v_fma_f64 v[4:5], v[96:97], s[0:1], v[4:5]
	v_fma_f64 v[104:105], v[96:97], s[0:1], v[104:105]
	v_add_f64 v[98:99], v[98:99], v[88:89]
	v_add_f64 v[2:3], v[2:3], v[88:89]
	;; [unrolled: 1-line block ×3, first 2 shown]
	v_fma_f64 v[6:7], v[96:97], s[0:1], v[6:7]
	v_add_f64 v[106:107], v[98:99], -v[104:105]
	v_add_f64 v[86:87], v[4:5], v[2:3]
	v_add_f64 v[2:3], v[2:3], -v[4:5]
	v_add_f64 v[84:85], v[0:1], -v[6:7]
	v_add_f64 v[0:1], v[6:7], v[0:1]
	ds_write2_b64 v238, v[92:93], v[106:107] offset0:10 offset1:59
	ds_write2_b64 v238, v[84:85], v[86:87] offset0:108 offset1:157
	;; [unrolled: 1-line block ×3, first 2 shown]
	v_add_f64 v[0:1], v[120:121], v[118:119]
	ds_write_b64 v202, v[0:1] offset:7840
	v_add_f64 v[0:1], v[122:123], v[114:115]
	ds_write_b64 v203, v[0:1] offset:10584
	;; [unrolled: 2-line block ×5, first 2 shown]
	s_waitcnt lgkmcnt(0)
	s_barrier
	buffer_gl0_inv
	s_and_saveexec_b32 s28, vcc_lo
	s_cbranch_execz .LBB0_15
; %bb.14:
	buffer_load_dword v226, off, s[36:39], 0 offset:304 ; 4-byte Folded Reload
	v_mov_b32_e32 v137, 0
	v_mul_lo_u32 v199, s26, v199
	s_waitcnt vmcnt(0)
	v_mul_i32_i24_e32 v136, 6, v226
	v_lshlrev_b64 v[0:1], 4, v[136:137]
	v_mul_i32_i24_e32 v136, 6, v247
	v_add_co_u32 v2, vcc_lo, s12, v0
	v_add_co_ci_u32_e32 v3, vcc_lo, s13, v1, vcc_lo
	v_lshlrev_b64 v[0:1], 4, v[136:137]
	v_add_co_u32 v4, vcc_lo, 0x1540, v2
	v_add_co_ci_u32_e32 v5, vcc_lo, 0, v3, vcc_lo
	v_add_co_u32 v108, vcc_lo, s12, v0
	v_add_co_ci_u32_e32 v109, vcc_lo, s13, v1, vcc_lo
	global_load_dwordx4 v[92:95], v[4:5], off offset:16
	v_add_co_u32 v4, vcc_lo, 0x1540, v108
	v_add_co_ci_u32_e32 v5, vcc_lo, 0, v109, vcc_lo
	v_add_co_u32 v0, vcc_lo, 0x1500, v2
	v_add_co_ci_u32_e32 v1, vcc_lo, 0, v3, vcc_lo
	;; [unrolled: 2-line block ×3, first 2 shown]
	s_clause 0x4
	global_load_dwordx4 v[104:107], v[0:1], off offset:16
	global_load_dwordx4 v[100:103], v[4:5], off offset:16
	global_load_dwordx4 v[96:99], v[6:7], off offset:16
	global_load_dwordx4 v[88:91], v[0:1], off offset:48
	global_load_dwordx4 v[84:87], v[6:7], off offset:48
	buffer_load_dword v112, off, s[36:39], 0 offset:56 ; 4-byte Folded Reload
	v_add_co_u32 v4, vcc_lo, 0x1000, v108
	v_add_co_ci_u32_e32 v5, vcc_lo, 0, v109, vcc_lo
	global_load_dwordx4 v[108:111], v[4:5], off offset:1280
	s_waitcnt vmcnt(1)
	v_mul_i32_i24_e32 v136, 6, v112
	v_lshlrev_b64 v[112:113], 4, v[136:137]
	v_add_co_u32 v128, vcc_lo, s12, v112
	v_add_co_ci_u32_e32 v129, vcc_lo, s13, v113, vcc_lo
	v_add_co_u32 v120, vcc_lo, 0x1000, v128
	v_add_co_ci_u32_e32 v121, vcc_lo, 0, v129, vcc_lo
	s_clause 0x2
	global_load_dwordx4 v[116:119], v[120:121], off offset:1280
	global_load_dwordx4 v[112:115], v[4:5], off offset:1344
	;; [unrolled: 1-line block ×3, first 2 shown]
	buffer_load_dword v4, off, s[36:39], 0 offset:440 ; 4-byte Folded Reload
	global_load_dwordx4 v[120:123], v[6:7], off offset:32
	v_add_co_u32 v6, vcc_lo, 0x1500, v128
	v_add_co_ci_u32_e32 v7, vcc_lo, 0, v129, vcc_lo
	s_waitcnt vmcnt(1)
	v_mul_i32_i24_e32 v136, 6, v4
	v_lshlrev_b64 v[4:5], 4, v[136:137]
	v_add_co_u32 v140, vcc_lo, s12, v4
	v_add_co_ci_u32_e32 v141, vcc_lo, s13, v5, vcc_lo
	v_add_co_u32 v4, vcc_lo, 0x1540, v128
	v_add_co_ci_u32_e32 v5, vcc_lo, 0, v129, vcc_lo
	;; [unrolled: 2-line block ×3, first 2 shown]
	s_clause 0x2
	global_load_dwordx4 v[152:155], v[6:7], off offset:32
	global_load_dwordx4 v[128:131], v[4:5], off offset:16
	;; [unrolled: 1-line block ×3, first 2 shown]
	v_add_co_u32 v4, vcc_lo, 0x1500, v140
	v_add_co_ci_u32_e32 v5, vcc_lo, 0, v141, vcc_lo
	s_clause 0x1
	global_load_dwordx4 v[148:151], v[6:7], off offset:16
	global_load_dwordx4 v[205:208], v[4:5], off offset:16
	s_clause 0x1
	buffer_load_dword v136, off, s[36:39], 0 offset:432
	buffer_load_dword v138, off, s[36:39], 0 offset:52
	global_load_dwordx4 v[209:212], v[6:7], off offset:48
	v_add_co_u32 v6, vcc_lo, 0x1000, v140
	v_add_co_ci_u32_e32 v7, vcc_lo, 0, v141, vcc_lo
	s_waitcnt vmcnt(2)
	v_mul_i32_i24_e32 v136, 6, v136
	s_waitcnt vmcnt(1)
	ds_read2_b64 v[164:167], v138 offset0:127 offset1:176
	s_clause 0x1
	global_load_dwordx4 v[213:216], v[4:5], off offset:48
	global_load_dwordx4 v[217:220], v[6:7], off offset:1280
	s_clause 0x1
	buffer_load_dword v190, off, s[36:39], 0 offset:8
	buffer_load_dword v233, off, s[36:39], 0 offset:16
	v_lshlrev_b64 v[138:139], 4, v[136:137]
	buffer_load_dword v136, off, s[36:39], 0 offset:572 ; 4-byte Folded Reload
	v_add_co_u32 v172, vcc_lo, s12, v138
	v_add_co_ci_u32_e32 v173, vcc_lo, s13, v139, vcc_lo
	v_add_co_u32 v178, vcc_lo, 0x1000, v172
	v_add_co_ci_u32_e32 v179, vcc_lo, 0, v173, vcc_lo
	;; [unrolled: 2-line block ×3, first 2 shown]
	global_load_dwordx4 v[221:224], v[178:179], off offset:1280
	s_waitcnt lgkmcnt(0)
	v_mul_f64 v[174:175], v[102:103], v[164:165]
	v_mul_f64 v[164:165], v[100:101], v[164:165]
	v_add_co_u32 v184, vcc_lo, 0x1540, v172
	v_add_co_ci_u32_e32 v185, vcc_lo, 0, v173, vcc_lo
	v_add_co_u32 v194, vcc_lo, 0x1500, v172
	v_add_co_ci_u32_e32 v195, vcc_lo, 0, v173, vcc_lo
	v_fma_f64 v[164:165], v[36:37], v[102:103], v[164:165]
	s_waitcnt vmcnt(3)
	ds_read2_b64 v[168:171], v190 offset0:163 offset1:212
	s_waitcnt vmcnt(2)
	ds_read2_b64 v[186:189], v233 offset0:81 offset1:130
	s_clause 0x2
	global_load_dwordx4 v[160:163], v[2:3], off offset:1280
	global_load_dwordx4 v[156:159], v[2:3], off offset:1344
	;; [unrolled: 1-line block ×3, first 2 shown]
	s_waitcnt vmcnt(4)
	v_mul_i32_i24_e32 v136, 6, v136
	v_mul_f64 v[2:3], v[94:95], v[166:167]
	v_mul_f64 v[166:167], v[92:93], v[166:167]
	v_lshlrev_b64 v[0:1], 4, v[136:137]
	s_clause 0x1
	global_load_dwordx4 v[136:139], v[4:5], off offset:32
	global_load_dwordx4 v[144:147], v[6:7], off offset:1344
	v_add_co_u32 v200, vcc_lo, s12, v0
	v_add_co_ci_u32_e32 v201, vcc_lo, s13, v1, vcc_lo
	s_waitcnt lgkmcnt(1)
	v_mul_f64 v[4:5], v[106:107], v[170:171]
	v_mul_f64 v[6:7], v[104:105], v[170:171]
	;; [unrolled: 1-line block ×4, first 2 shown]
	s_waitcnt lgkmcnt(0)
	v_mul_f64 v[0:1], v[90:91], v[188:189]
	v_fma_f64 v[172:173], v[38:39], v[92:93], -v[2:3]
	v_fma_f64 v[170:171], v[38:39], v[94:95], v[166:167]
	v_fma_f64 v[166:167], v[36:37], v[100:101], -v[174:175]
	v_mul_f64 v[2:3], v[88:89], v[188:189]
	v_mul_i32_i24_e32 v38, 0xffffffd0, v226
	v_fma_f64 v[182:183], v[14:15], v[104:105], -v[4:5]
	v_add_co_u32 v4, vcc_lo, 0x1540, v200
	v_add_co_ci_u32_e32 v5, vcc_lo, 0, v201, vcc_lo
	v_fma_f64 v[176:177], v[14:15], v[106:107], v[6:7]
	s_clause 0x2
	global_load_dwordx4 v[104:107], v[184:185], off offset:16
	global_load_dwordx4 v[80:83], v[194:195], off offset:32
	;; [unrolled: 1-line block ×3, first 2 shown]
	v_fma_f64 v[174:175], v[12:13], v[96:97], -v[180:181]
	s_clause 0x1
	global_load_dwordx4 v[94:97], v[178:179], off offset:1344
	global_load_dwordx4 v[76:79], v[4:5], off offset:16
	s_clause 0x3
	buffer_load_dword v181, off, s[36:39], 0 offset:48
	buffer_load_dword v180, off, s[36:39], 0 offset:40
	;; [unrolled: 1-line block ×4, first 2 shown]
	v_fma_f64 v[184:185], v[30:31], v[88:89], -v[0:1]
	v_fma_f64 v[88:89], v[30:31], v[90:91], v[2:3]
	v_mul_f64 v[0:1], v[86:87], v[186:187]
	v_mul_f64 v[2:3], v[84:85], v[186:187]
	v_fma_f64 v[168:169], v[12:13], v[98:99], v[168:169]
	v_add_co_u32 v98, vcc_lo, 0x1500, v200
	v_add_co_ci_u32_e32 v99, vcc_lo, 0, v201, vcc_lo
	global_load_dwordx4 v[90:93], v[98:99], off offset:16
	v_fma_f64 v[74:75], v[28:29], v[84:85], -v[0:1]
	v_fma_f64 v[72:73], v[28:29], v[86:87], v[2:3]
	ds_read2_b64 v[0:3], v225 offset0:27 offset1:76
	s_waitcnt lgkmcnt(0)
	v_mul_f64 v[4:5], v[110:111], v[2:3]
	v_mul_f64 v[2:3], v[108:109], v[2:3]
	v_fma_f64 v[86:87], v[26:27], v[108:109], -v[4:5]
	v_fma_f64 v[84:85], v[26:27], v[110:111], v[2:3]
	v_mul_f64 v[2:3], v[118:119], v[0:1]
	v_mul_f64 v[0:1], v[116:117], v[0:1]
	v_add_f64 v[32:33], v[86:87], -v[166:167]
	v_add_f64 v[86:87], v[86:87], v[166:167]
	v_fma_f64 v[70:71], v[24:25], v[116:117], -v[2:3]
	v_fma_f64 v[68:69], v[24:25], v[118:119], v[0:1]
	s_waitcnt vmcnt(4)
	ds_read2_b64 v[108:111], v181 offset0:119 offset1:168
	s_waitcnt vmcnt(1)
	ds_read2_b64 v[0:3], v232 offset0:201 offset1:250
	s_waitcnt lgkmcnt(1)
	v_mul_f64 v[4:5], v[114:115], v[110:111]
	v_mul_f64 v[6:7], v[112:113], v[110:111]
	;; [unrolled: 1-line block ×4, first 2 shown]
	ds_read2_b64 v[108:111], v180 offset0:157 offset1:206
	v_fma_f64 v[188:189], v[10:11], v[112:113], -v[4:5]
	s_waitcnt lgkmcnt(1)
	v_mul_f64 v[4:5], v[122:123], v[2:3]
	v_fma_f64 v[186:187], v[10:11], v[114:115], v[6:7]
	v_fma_f64 v[66:67], v[8:9], v[124:125], -v[116:117]
	v_fma_f64 v[64:65], v[8:9], v[126:127], v[118:119]
	v_mul_f64 v[114:115], v[154:155], v[0:1]
	s_waitcnt lgkmcnt(0)
	v_mul_f64 v[118:119], v[130:131], v[110:111]
	v_mul_f64 v[124:125], v[128:129], v[110:111]
	;; [unrolled: 1-line block ×6, first 2 shown]
	ds_read2_b64 v[0:3], v190 offset0:65 offset1:114
	v_fma_f64 v[192:193], v[20:21], v[120:121], -v[4:5]
	buffer_load_dword v4, off, s[36:39], 0 offset:84 ; 4-byte Folded Reload
	v_fma_f64 v[62:63], v[18:19], v[152:153], -v[114:115]
	v_fma_f64 v[152:153], v[58:59], v[128:129], -v[118:119]
	v_fma_f64 v[130:131], v[58:59], v[130:131], v[124:125]
	v_fma_f64 v[58:59], v[56:57], v[132:133], -v[178:179]
	v_fma_f64 v[108:109], v[56:57], v[134:135], v[108:109]
	buffer_load_dword v56, off, s[36:39], 0 offset:44 ; 4-byte Folded Reload
	v_fma_f64 v[190:191], v[20:21], v[122:123], v[6:7]
	v_fma_f64 v[60:61], v[18:19], v[154:155], v[116:117]
	s_waitcnt lgkmcnt(0)
	v_mul_f64 v[6:7], v[148:149], v[2:3]
	v_mul_f64 v[114:115], v[207:208], v[0:1]
	;; [unrolled: 1-line block ×3, first 2 shown]
	ds_read2_b64 v[126:129], v225 offset0:125 offset1:174
	ds_read2_b64 v[120:123], v236 offset0:43 offset1:92
	s_waitcnt vmcnt(1)
	ds_read2_b64 v[110:113], v4 offset0:111 offset1:160
	v_mul_f64 v[4:5], v[150:151], v[2:3]
	ds_read2_b64 v[0:3], v235 offset0:185 offset1:234
	s_waitcnt vmcnt(0)
	ds_read2_b64 v[132:135], v56 offset0:89 offset1:138
	v_fma_f64 v[56:57], v[54:55], v[150:151], v[6:7]
	s_waitcnt lgkmcnt(4)
	v_mul_f64 v[6:7], v[162:163], v[126:127]
	v_mul_f64 v[126:127], v[160:161], v[126:127]
	s_waitcnt lgkmcnt(2)
	v_mul_f64 v[118:119], v[211:212], v[112:113]
	v_mul_f64 v[112:113], v[209:210], v[112:113]
	;; [unrolled: 1-line block ×4, first 2 shown]
	s_waitcnt lgkmcnt(1)
	v_mul_f64 v[178:179], v[219:220], v[2:3]
	v_fma_f64 v[148:149], v[54:55], v[148:149], -v[4:5]
	v_mul_f64 v[2:3], v[217:218], v[2:3]
	v_mul_f64 v[4:5], v[223:224], v[0:1]
	;; [unrolled: 1-line block ×3, first 2 shown]
	v_fma_f64 v[54:55], v[52:53], v[205:206], -v[114:115]
	v_fma_f64 v[110:111], v[52:53], v[207:208], v[116:117]
	global_load_dwordx4 v[114:117], v[194:195], off offset:48
	ds_read2_b64 v[205:208], v181 offset0:21 offset1:70
	s_waitcnt lgkmcnt(1)
	v_mul_f64 v[150:151], v[158:159], v[132:133]
	v_mul_f64 v[132:133], v[156:157], v[132:133]
	v_fma_f64 v[52:53], v[50:51], v[209:210], -v[118:119]
	v_fma_f64 v[50:51], v[50:51], v[211:212], v[112:113]
	v_fma_f64 v[124:125], v[48:49], v[213:214], -v[124:125]
	v_fma_f64 v[118:119], v[48:49], v[215:216], v[154:155]
	ds_read2_b64 v[209:212], v232 offset0:103 offset1:152
	ds_read2_b64 v[213:216], v180 offset0:59 offset1:108
	v_fma_f64 v[48:49], v[46:47], v[217:218], -v[178:179]
	v_fma_f64 v[112:113], v[46:47], v[219:220], v[2:3]
	v_fma_f64 v[2:3], v[44:45], v[221:222], -v[4:5]
	v_fma_f64 v[0:1], v[44:45], v[223:224], v[0:1]
	buffer_load_dword v44, off, s[36:39], 0 offset:36 ; 4-byte Folded Reload
	v_add_co_u32 v180, vcc_lo, 0x1000, v200
	v_add_co_ci_u32_e32 v181, vcc_lo, 0, v201, vcc_lo
	v_mul_f64 v[154:155], v[142:143], v[120:121]
	v_mul_f64 v[4:5], v[140:141], v[120:121]
	s_waitcnt lgkmcnt(2)
	v_mul_f64 v[120:121], v[146:147], v[207:208]
	v_mul_f64 v[178:179], v[144:145], v[207:208]
	s_waitcnt lgkmcnt(1)
	v_mul_f64 v[200:201], v[80:81], v[209:210]
	s_waitcnt lgkmcnt(0)
	v_mul_f64 v[194:195], v[104:105], v[215:216]
	v_mul_f64 v[202:203], v[78:79], v[213:214]
	v_fma_f64 v[120:121], v[42:43], v[144:145], -v[120:121]
	v_fma_f64 v[178:179], v[42:43], v[146:147], v[178:179]
	v_mul_f64 v[144:145], v[96:97], v[205:206]
	v_mul_f64 v[146:147], v[94:95], v[205:206]
	;; [unrolled: 1-line block ×3, first 2 shown]
	v_fma_f64 v[218:219], v[40:41], v[96:97], v[146:147]
	v_add_f64 v[96:97], v[174:175], v[188:189]
	v_add_f64 v[146:147], v[50:51], v[60:61]
	v_add_f64 v[50:51], v[50:51], -v[60:61]
	s_waitcnt vmcnt(0)
	ds_read2_b64 v[44:47], v44 offset0:95 offset1:144
	s_clause 0x7
	buffer_load_dword v239, off, s[36:39], 0 offset:208
	buffer_load_dword v240, off, s[36:39], 0 offset:212
	buffer_load_dword v241, off, s[36:39], 0 offset:216
	buffer_load_dword v242, off, s[36:39], 0 offset:220
	buffer_load_dword v8, off, s[36:39], 0 offset:448
	buffer_load_dword v9, off, s[36:39], 0 offset:452
	buffer_load_dword v10, off, s[36:39], 0 offset:456
	buffer_load_dword v11, off, s[36:39], 0 offset:460
	s_waitcnt lgkmcnt(0)
	v_mul_f64 v[42:43], v[102:103], v[46:47]
	v_mul_f64 v[46:47], v[100:101], v[46:47]
	;; [unrolled: 1-line block ×3, first 2 shown]
	s_waitcnt vmcnt(6)
	v_fma_f64 v[6:7], v[239:240], v[160:161], -v[6:7]
	v_fma_f64 v[12:13], v[239:240], v[162:163], v[126:127]
	s_waitcnt vmcnt(2)
	v_fma_f64 v[150:151], v[8:9], v[156:157], -v[150:151]
	v_fma_f64 v[20:21], v[8:9], v[158:159], v[132:133]
	global_load_dwordx4 v[156:159], v[180:181], off offset:1344
	s_clause 0x8
	buffer_load_dword v237, off, s[36:39], 0 offset:176
	buffer_load_dword v238, off, s[36:39], 0 offset:180
	;; [unrolled: 1-line block ×9, first 2 shown]
	v_mul_f64 v[126:127], v[138:139], v[211:212]
	v_mul_f64 v[160:161], v[136:137], v[211:212]
	;; [unrolled: 1-line block ×4, first 2 shown]
	v_add_f64 v[30:31], v[6:7], -v[172:173]
	v_add_f64 v[6:7], v[6:7], v[172:173]
	v_add_f64 v[36:37], v[182:183], -v[150:151]
	v_add_f64 v[172:173], v[48:49], v[58:59]
	s_waitcnt vmcnt(7)
	v_fma_f64 v[132:133], v[237:238], v[140:141], -v[154:155]
	v_fma_f64 v[4:5], v[237:238], v[142:143], v[4:5]
	s_waitcnt vmcnt(0)
	v_add_nc_u32_e32 v38, v39, v38
	global_load_dwordx4 v[140:143], v[98:99], off offset:32
	v_mul_f64 v[154:155], v[106:107], v[215:216]
	v_fma_f64 v[216:217], v[40:41], v[94:95], -v[144:145]
	v_add_f64 v[40:41], v[12:13], v[170:171]
	ds_read_b64 v[38:39], v38
	s_clause 0x7
	buffer_load_dword v14, off, s[36:39], 0 offset:504
	buffer_load_dword v15, off, s[36:39], 0 offset:508
	;; [unrolled: 1-line block ×8, first 2 shown]
	v_add_f64 v[12:13], v[12:13], -v[170:171]
	v_fma_f64 v[126:127], v[28:29], v[136:137], -v[126:127]
	v_fma_f64 v[136:137], v[28:29], v[138:139], v[160:161]
	v_fma_f64 v[212:213], v[26:27], v[80:81], -v[162:163]
	v_fma_f64 v[200:201], v[26:27], v[82:83], v[200:201]
	v_add_f64 v[82:83], v[84:85], v[164:165]
	v_add_f64 v[94:95], v[72:73], v[190:191]
	v_add_f64 v[84:85], v[84:85], -v[164:165]
	v_add_f64 v[72:73], v[72:73], -v[190:191]
	v_add_f64 v[144:145], v[56:57], v[64:65]
	v_add_f64 v[56:57], v[56:57], -v[64:65]
	v_add_f64 v[34:35], v[184:185], -v[132:133]
	v_add_f64 v[44:45], v[88:89], v[4:5]
	v_add_f64 v[4:5], v[88:89], -v[4:5]
	v_add_f64 v[80:81], v[184:185], v[132:133]
	v_add_f64 v[88:89], v[168:169], v[186:187]
	;; [unrolled: 1-line block ×3, first 2 shown]
	v_add_f64 v[164:165], v[82:83], -v[94:95]
	v_add_f64 v[60:61], v[40:41], -v[44:45]
	v_add_f64 v[162:163], v[82:83], v[88:89]
	v_add_f64 v[166:167], v[94:95], -v[88:89]
	v_add_f64 v[82:83], v[88:89], -v[82:83]
	;; [unrolled: 1-line block ×3, first 2 shown]
	v_add_f64 v[94:95], v[94:95], v[162:163]
	v_add_f64 v[162:163], v[132:133], -v[146:147]
	s_waitcnt vmcnt(4)
	v_fma_f64 v[210:211], v[16:17], v[104:105], -v[154:155]
	s_waitcnt vmcnt(0)
	v_fma_f64 v[214:215], v[24:25], v[100:101], -v[42:43]
	v_add_f64 v[42:43], v[176:177], v[20:21]
	v_add_f64 v[20:21], v[176:177], -v[20:21]
	v_fma_f64 v[194:195], v[16:17], v[106:107], v[194:195]
	v_fma_f64 v[220:221], v[24:25], v[102:103], v[46:47]
	v_add_f64 v[46:47], v[182:183], v[150:151]
	v_fma_f64 v[202:203], v[14:15], v[76:77], -v[202:203]
	v_fma_f64 v[138:139], v[14:15], v[78:79], v[204:205]
	v_add_f64 v[76:77], v[74:75], -v[192:193]
	v_add_f64 v[78:79], v[174:175], -v[188:189]
	v_add_f64 v[74:75], v[74:75], v[192:193]
	v_add_f64 v[100:101], v[168:169], -v[186:187]
	v_add_f64 v[102:103], v[70:71], -v[152:153]
	;; [unrolled: 1-line block ×4, first 2 shown]
	v_add_f64 v[70:71], v[70:71], v[152:153]
	v_add_f64 v[66:67], v[148:149], v[66:67]
	;; [unrolled: 1-line block ×3, first 2 shown]
	v_add_f64 v[62:63], v[68:69], -v[130:131]
	v_add_f64 v[130:131], v[48:49], -v[58:59]
	;; [unrolled: 1-line block ×4, first 2 shown]
	v_add_f64 v[120:121], v[54:55], v[120:121]
	v_add_f64 v[58:59], v[40:41], v[42:43]
	v_add_f64 v[160:161], v[4:5], -v[20:21]
	v_add_f64 v[4:5], v[4:5], v[20:21]
	v_add_f64 v[48:49], v[30:31], -v[34:35]
	v_add_f64 v[54:55], v[34:35], -v[36:37]
	v_add_f64 v[34:35], v[34:35], v[36:37]
	v_add_f64 v[64:65], v[44:45], -v[42:43]
	v_add_f64 v[68:69], v[6:7], v[46:47]
	v_add_f64 v[148:149], v[6:7], -v[80:81]
	v_add_f64 v[150:151], v[80:81], -v[46:47]
	;; [unrolled: 1-line block ×8, first 2 shown]
	v_add_f64 v[76:77], v[76:77], v[78:79]
	v_add_f64 v[168:169], v[86:87], v[96:97]
	v_add_f64 v[170:171], v[86:87], -v[74:75]
	v_add_f64 v[174:175], v[74:75], -v[96:97]
	;; [unrolled: 1-line block ×4, first 2 shown]
	v_add_f64 v[72:73], v[72:73], v[100:101]
	v_add_f64 v[44:45], v[44:45], v[58:59]
	;; [unrolled: 1-line block ×5, first 2 shown]
	v_add_f64 v[78:79], v[78:79], -v[32:33]
	v_add_f64 v[34:35], v[30:31], v[34:35]
	v_add_f64 v[30:31], v[104:105], v[106:107]
	v_add_f64 v[100:101], v[100:101], -v[84:85]
	v_mul_f64 v[64:65], v[64:65], s[16:17]
	v_add_f64 v[176:177], v[70:71], -v[52:53]
	v_add_f64 v[182:183], v[66:67], -v[70:71]
	;; [unrolled: 1-line block ×3, first 2 shown]
	v_add_f64 v[68:69], v[80:81], v[68:69]
	v_add_f64 v[80:81], v[102:103], -v[104:105]
	v_add_f64 v[104:105], v[104:105], -v[106:107]
	v_add_f64 v[76:77], v[32:33], v[76:77]
	v_add_f64 v[32:33], v[50:51], v[56:57]
	;; [unrolled: 1-line block ×3, first 2 shown]
	v_mul_f64 v[168:169], v[60:61], s[4:5]
	v_add_f64 v[132:133], v[144:145], -v[132:133]
	v_add_f64 v[144:145], v[146:147], -v[144:145]
	v_add_f64 v[72:73], v[84:85], v[72:73]
	v_mul_f64 v[84:85], v[36:37], s[18:19]
	v_add_f64 v[70:71], v[146:147], v[58:59]
	v_mul_f64 v[58:59], v[150:151], s[16:17]
	v_add_f64 v[12:13], v[52:53], v[12:13]
	v_mul_f64 v[52:53], v[148:149], s[4:5]
	v_add_f64 v[106:107], v[106:107], -v[102:103]
	v_add_f64 v[102:103], v[102:103], v[30:31]
	v_add_f64 v[184:185], v[62:63], -v[50:51]
	v_add_f64 v[50:51], v[50:51], -v[56:57]
	;; [unrolled: 1-line block ×3, first 2 shown]
	s_clause 0x1
	buffer_load_dword v30, off, s[36:39], 0 offset:144
	buffer_load_dword v31, off, s[36:39], 0 offset:148
	v_mul_f64 v[146:147], v[166:167], s[16:17]
	v_mul_f64 v[54:55], v[54:55], s[14:15]
	v_mul_f64 v[96:97], v[96:97], s[14:15]
	v_mul_f64 v[46:47], v[46:47], s[14:15]
	v_mul_f64 v[104:105], v[104:105], s[14:15]
	v_add_f64 v[186:187], v[62:63], v[32:33]
	v_mul_f64 v[62:63], v[160:161], s[14:15]
	v_fma_f64 v[160:161], v[60:61], s[4:5], v[64:65]
	v_fma_f64 v[166:167], v[40:41], s[24:25], -v[168:169]
	v_fma_f64 v[40:41], v[40:41], s[20:21], -v[64:65]
	buffer_load_dword v60, off, s[36:39], 0 offset:32 ; 4-byte Folded Reload
	v_fma_f64 v[64:65], v[48:49], s[22:23], -v[84:85]
	s_waitcnt lgkmcnt(0)
	v_add_f64 v[32:33], v[38:39], v[44:45]
	v_fma_f64 v[84:85], v[148:149], s[4:5], v[58:59]
	v_mul_f64 v[38:39], v[20:21], s[18:19]
	v_fma_f64 v[52:53], v[6:7], s[24:25], -v[52:53]
	v_fma_f64 v[6:7], v[6:7], s[20:21], -v[58:59]
	buffer_load_dword v58, off, s[36:39], 0 offset:4 ; 4-byte Folded Reload
	v_mul_f64 v[168:169], v[174:175], s[16:17]
	v_mul_f64 v[148:149], v[78:79], s[18:19]
	;; [unrolled: 1-line block ×5, first 2 shown]
	v_fma_f64 v[48:49], v[48:49], s[8:9], v[54:55]
	v_fma_f64 v[36:37], v[36:37], s[18:19], -v[54:55]
	v_mul_f64 v[54:55], v[164:165], s[4:5]
	v_fma_f64 v[164:165], v[164:165], s[4:5], v[146:147]
	v_fma_f64 v[190:191], v[88:89], s[8:9], v[96:97]
	v_fma_f64 v[20:21], v[20:21], s[18:19], -v[62:63]
	v_fma_f64 v[96:97], v[100:101], s[18:19], -v[96:97]
	v_fma_f64 v[192:193], v[80:81], s[8:9], v[104:105]
	v_fma_f64 v[104:105], v[106:107], s[18:19], -v[104:105]
	v_add_f64 v[28:29], v[152:153], -v[130:131]
	v_fma_f64 v[50:51], v[34:35], s[0:1], v[64:65]
	v_fma_f64 v[44:45], v[44:45], s[6:7], v[32:33]
	v_fma_f64 v[38:39], v[154:155], s[22:23], -v[38:39]
	v_fma_f64 v[154:155], v[154:155], s[8:9], v[62:63]
	v_mul_f64 v[62:63], v[170:171], s[4:5]
	v_fma_f64 v[170:171], v[170:171], s[4:5], v[168:169]
	v_fma_f64 v[168:169], v[86:87], s[20:21], -v[168:169]
	v_fma_f64 v[174:175], v[42:43], s[22:23], -v[148:149]
	v_fma_f64 v[42:43], v[42:43], s[8:9], v[46:47]
	v_fma_f64 v[46:47], v[78:79], s[18:19], -v[46:47]
	v_mul_f64 v[78:79], v[106:107], s[18:19]
	v_mul_f64 v[148:149], v[162:163], s[4:5]
	v_fma_f64 v[54:55], v[82:83], s[24:25], -v[54:55]
	v_fma_f64 v[82:83], v[82:83], s[20:21], -v[146:147]
	v_mul_f64 v[146:147], v[100:101], s[18:19]
	v_fma_f64 v[106:107], v[162:163], s[4:5], v[144:145]
	v_fma_f64 v[204:205], v[132:133], s[20:21], -v[144:145]
	v_fma_f64 v[226:227], v[182:183], s[20:21], -v[66:67]
	;; [unrolled: 1-line block ×3, first 2 shown]
	v_fma_f64 v[104:105], v[102:103], s[0:1], v[104:105]
	v_fma_f64 v[64:65], v[4:5], s[0:1], v[154:155]
	v_fma_f64 v[62:63], v[86:87], s[24:25], -v[62:63]
	v_add_f64 v[154:155], v[160:161], v[44:45]
	v_add_f64 v[160:161], v[166:167], v[44:45]
	v_fma_f64 v[132:133], v[132:133], s[24:25], -v[148:149]
	v_fma_f64 v[188:189], v[88:89], s[22:23], -v[146:147]
	v_fma_f64 v[166:167], v[72:73], s[0:1], v[188:189]
	s_waitcnt vmcnt(2)
	v_add_f64 v[30:31], v[30:31], v[68:69]
	s_waitcnt vmcnt(1)
	ds_read_b64 v[60:61], v60
	s_waitcnt vmcnt(0)
	ds_read_b64 v[150:151], v58
	s_clause 0x4
	buffer_load_dword v58, off, s[36:39], 0 offset:136
	buffer_load_dword v59, off, s[36:39], 0 offset:140
	;; [unrolled: 1-line block ×5, first 2 shown]
	v_fma_f64 v[68:69], v[68:69], s[6:7], v[30:31]
	s_waitcnt lgkmcnt(1)
	v_add_f64 v[60:61], v[60:61], v[94:95]
	s_waitcnt lgkmcnt(0)
	v_add_f64 v[88:89], v[150:151], v[70:71]
	s_clause 0x1
	global_load_dwordx4 v[144:147], v[180:181], off offset:1280
	global_load_dwordx4 v[148:151], v[98:99], off offset:48
	v_add_f64 v[98:99], v[124:125], -v[126:127]
	v_mul_f64 v[180:181], v[56:57], s[18:19]
	v_add_f64 v[124:125], v[124:125], v[126:127]
	v_add_f64 v[126:127], v[110:111], v[178:179]
	;; [unrolled: 1-line block ×5, first 2 shown]
	v_fma_f64 v[84:85], v[72:73], s[0:1], v[96:97]
	v_add_f64 v[52:53], v[160:161], -v[50:51]
	v_add_f64 v[110:111], v[110:111], -v[178:179]
	s_waitcnt vmcnt(5)
	v_add_f64 v[58:59], v[58:59], v[74:75]
	s_waitcnt vmcnt(3)
	v_add_f64 v[86:87], v[86:87], v[12:13]
	s_waitcnt vmcnt(2)
	v_add_co_u32 v230, s12, s12, v100
	v_fma_f64 v[100:101], v[80:81], s[22:23], -v[78:79]
	v_fma_f64 v[80:81], v[34:35], s[0:1], v[48:49]
	v_fma_f64 v[34:35], v[34:35], s[0:1], v[36:37]
	;; [unrolled: 1-line block ×4, first 2 shown]
	v_mul_f64 v[174:175], v[176:177], s[4:5]
	v_fma_f64 v[176:177], v[176:177], s[4:5], v[66:67]
	v_add_co_ci_u32_e64 v231, null, s13, 0, s12
	v_add_co_u32 v78, vcc_lo, 0x1540, v230
	v_add_co_ci_u32_e32 v79, vcc_lo, 0, v231, vcc_lo
	v_add_co_u32 v222, vcc_lo, 0x1000, v230
	v_add_co_ci_u32_e32 v223, vcc_lo, 0, v231, vcc_lo
	v_fma_f64 v[48:49], v[74:75], s[6:7], v[58:59]
	v_fma_f64 v[74:75], v[4:5], s[0:1], v[38:39]
	;; [unrolled: 1-line block ×4, first 2 shown]
	v_add_f64 v[42:43], v[40:41], v[44:45]
	v_add_f64 v[44:45], v[50:51], v[160:161]
	v_add_f64 v[56:57], v[154:155], -v[80:81]
	v_add_f64 v[188:189], v[54:55], v[36:37]
	v_add_f64 v[164:165], v[164:165], v[36:37]
	;; [unrolled: 1-line block ×5, first 2 shown]
	v_mad_u64_u32 v[154:155], null, s26, v198, 0
	v_fma_f64 v[76:77], v[76:77], s[0:1], v[46:47]
	v_fma_f64 v[12:13], v[12:13], s[6:7], v[86:87]
	v_add_f64 v[96:97], v[168:169], v[48:49]
	v_fma_f64 v[168:169], v[72:73], s[0:1], v[190:191]
	v_add_f64 v[62:63], v[62:63], v[48:49]
	v_add_f64 v[170:171], v[170:171], v[48:49]
	v_add_f64 v[40:41], v[42:43], -v[34:35]
	v_add_f64 v[48:49], v[34:35], v[42:43]
	v_add_f64 v[42:43], v[162:163], -v[74:75]
	;; [unrolled: 2-line block ×4, first 2 shown]
	v_add_f64 v[64:65], v[20:21], v[164:165]
	v_fma_f64 v[94:95], v[184:185], s[22:23], -v[180:181]
	v_fma_f64 v[190:191], v[70:71], s[6:7], v[88:89]
	v_add_f64 v[38:39], v[4:5], v[6:7]
	v_add_f64 v[46:47], v[6:7], -v[4:5]
	v_fma_f64 v[4:5], v[182:183], s[24:25], -v[174:175]
	v_add_f64 v[6:7], v[112:113], v[108:109]
	v_add_f64 v[68:69], v[82:83], -v[76:77]
	v_add_f64 v[76:77], v[76:77], v[82:83]
	global_load_dwordx4 v[160:163], v[78:79], off offset:16
	v_fma_f64 v[174:175], v[186:187], s[0:1], v[228:229]
	v_add_f64 v[66:67], v[84:85], v[96:97]
	v_add_f64 v[74:75], v[96:97], -v[84:85]
	v_add_f64 v[84:85], v[164:165], -v[20:21]
	v_fma_f64 v[20:21], v[184:185], s[8:9], v[224:225]
	v_add_f64 v[96:97], v[98:99], -v[152:153]
	v_add_f64 v[184:185], v[118:119], v[136:137]
	v_mul_lo_u32 v224, s27, v198
	v_add_f64 v[70:71], v[62:63], -v[166:167]
	v_add_f64 v[78:79], v[166:167], v[62:63]
	v_add_f64 v[62:63], v[170:171], -v[168:169]
	v_add_f64 v[82:83], v[168:169], v[170:171]
	v_add_f64 v[170:171], v[226:227], v[12:13]
	v_fma_f64 v[180:181], v[102:103], s[0:1], v[192:193]
	v_add_f64 v[168:169], v[204:205], v[190:191]
	v_add3_u32 v155, v155, v199, v224
	v_fma_f64 v[182:183], v[102:103], s[0:1], v[100:101]
	v_fma_f64 v[192:193], v[22:23], v[90:91], -v[206:207]
	v_fma_f64 v[204:205], v[22:23], v[92:93], v[208:209]
	v_add_f64 v[132:133], v[132:133], v[190:191]
	v_add_f64 v[4:5], v[4:5], v[12:13]
	;; [unrolled: 1-line block ×3, first 2 shown]
	v_add_f64 v[152:153], v[130:131], -v[98:99]
	v_add_f64 v[92:93], v[6:7], v[126:127]
	v_fma_f64 v[94:95], v[186:187], s[0:1], v[94:95]
	v_add_f64 v[118:119], v[118:119], -v[136:137]
	v_add_f64 v[178:179], v[106:107], v[190:191]
	v_mul_f64 v[188:189], v[96:97], s[14:15]
	v_add_f64 v[96:97], v[184:185], -v[126:127]
	v_mul_f64 v[190:191], v[28:29], s[18:19]
	v_add_f64 v[12:13], v[176:177], v[12:13]
	v_fma_f64 v[20:21], v[186:187], s[0:1], v[20:21]
	v_add_f64 v[186:187], v[112:113], -v[108:109]
	global_load_dwordx4 v[164:167], v[222:223], off offset:1280
	v_add_f64 v[98:99], v[174:175], v[170:171]
	v_add_f64 v[102:103], v[170:171], -v[174:175]
	v_add_f64 v[100:101], v[168:169], -v[104:105]
	v_add_f64 v[104:105], v[104:105], v[168:169]
	global_load_dwordx4 v[168:171], v[222:223], off offset:1344
	v_add_f64 v[136:137], v[172:173], v[120:121]
	v_add_f64 v[174:175], v[124:125], -v[120:121]
	v_add_f64 v[108:109], v[132:133], -v[182:183]
	;; [unrolled: 1-line block ×3, first 2 shown]
	v_add_f64 v[208:209], v[130:131], v[90:91]
	v_add_f64 v[198:199], v[6:7], -v[184:185]
	v_add_f64 v[222:223], v[184:185], v[92:93]
	v_add_f64 v[92:93], v[182:183], v[132:133]
	v_add_f64 v[90:91], v[4:5], -v[94:95]
	v_add_f64 v[182:183], v[118:119], -v[110:111]
	v_fma_f64 v[206:207], v[152:153], s[8:9], v[188:189]
	v_mul_f64 v[224:225], v[96:97], s[16:17]
	buffer_load_dword v96, off, s[36:39], 0 offset:28 ; 4-byte Folded Reload
	v_add_f64 v[106:107], v[94:95], v[4:5]
	v_fma_f64 v[4:5], v[152:153], s[22:23], -v[190:191]
	v_add_f64 v[152:153], v[118:119], v[110:111]
	v_add_f64 v[94:95], v[12:13], -v[20:21]
	v_add_f64 v[112:113], v[178:179], -v[180:181]
	;; [unrolled: 1-line block ×3, first 2 shown]
	v_fma_f64 v[28:29], v[28:29], s[18:19], -v[188:189]
	v_add_co_u32 v188, vcc_lo, 0x1500, v230
	v_add_f64 v[124:125], v[124:125], v[136:137]
	v_mul_f64 v[136:137], v[174:175], s[16:17]
	ds_read2_b64 v[172:175], v236 offset0:141 offset1:190
	v_mul_f64 v[184:185], v[176:177], s[4:5]
	v_add_co_ci_u32_e32 v189, vcc_lo, 0, v231, vcc_lo
	v_add_f64 v[6:7], v[126:127], -v[6:7]
	v_mul_f64 v[126:127], v[198:199], s[4:5]
	v_add_f64 v[118:119], v[186:187], -v[118:119]
	v_fma_f64 v[4:5], v[208:209], s[0:1], v[4:5]
	v_add_f64 v[152:153], v[186:187], v[152:153]
	v_fma_f64 v[190:191], v[176:177], s[4:5], v[136:137]
	v_mul_f64 v[176:177], v[182:183], s[14:15]
	v_fma_f64 v[126:127], v[6:7], s[24:25], -v[126:127]
	v_fma_f64 v[6:7], v[6:7], s[20:21], -v[224:225]
	s_waitcnt vmcnt(0)
	ds_read_b64 v[130:131], v96
	v_add_f64 v[96:97], v[180:181], v[178:179]
	v_add_f64 v[178:179], v[110:111], -v[186:187]
	v_add_f64 v[110:111], v[20:21], v[12:13]
	buffer_load_dword v20, off, s[36:39], 0 offset:24 ; 4-byte Folded Reload
	v_fma_f64 v[12:13], v[208:209], s[0:1], v[206:207]
	v_fma_f64 v[206:207], v[208:209], s[0:1], v[28:29]
	v_fma_f64 v[28:29], v[120:121], s[20:21], -v[136:137]
	s_waitcnt lgkmcnt(1)
	v_mul_f64 v[136:137], v[114:115], v[174:175]
	s_waitcnt lgkmcnt(0)
	v_add_f64 v[132:133], v[130:131], v[222:223]
	v_mul_f64 v[186:187], v[178:179], s[18:19]
	v_fma_f64 v[178:179], v[178:179], s[18:19], -v[176:177]
	v_fma_f64 v[26:27], v[222:223], s[6:7], v[132:133]
	v_mul_f64 v[222:223], v[160:161], v[134:135]
	v_fma_f64 v[208:209], v[118:119], s[22:23], -v[186:187]
	v_fma_f64 v[118:119], v[118:119], s[8:9], v[176:177]
	v_add_f64 v[126:127], v[126:127], v[26:27]
	v_add_f64 v[6:7], v[6:7], v[26:27]
	s_waitcnt vmcnt(0)
	ds_read_b64 v[180:181], v20
	s_clause 0x1
	buffer_load_dword v130, off, s[36:39], 0 offset:116
	buffer_load_dword v131, off, s[36:39], 0 offset:120
	v_fma_f64 v[20:21], v[198:199], s[4:5], v[224:225]
	v_fma_f64 v[198:199], v[120:121], s[24:25], -v[184:185]
	global_load_dwordx4 v[182:185], v[188:189], off offset:16
	s_clause 0x3
	buffer_load_dword v14, off, s[36:39], 0 offset:472
	buffer_load_dword v15, off, s[36:39], 0 offset:476
	;; [unrolled: 1-line block ×4, first 2 shown]
	v_mul_f64 v[120:121], v[116:117], v[174:175]
	s_clause 0x1
	global_load_dwordx4 v[174:177], v[188:189], off offset:48
	global_load_dwordx4 v[186:189], v[188:189], off offset:32
	v_add_f64 v[20:21], v[20:21], v[26:27]
	v_add_f64 v[18:19], v[12:13], v[20:21]
	v_add_f64 v[22:23], v[20:21], -v[12:13]
	s_waitcnt vmcnt(7)
	v_add_f64 v[130:131], v[130:131], v[124:125]
	s_waitcnt vmcnt(2)
	v_fma_f64 v[224:225], v[16:17], v[114:115], -v[120:121]
	v_fma_f64 v[136:137], v[16:17], v[116:117], v[136:137]
	v_add_f64 v[120:121], v[206:207], v[6:7]
	v_fma_f64 v[114:115], v[124:125], s[6:7], v[130:131]
	v_fma_f64 v[124:125], v[152:153], s[0:1], v[178:179]
	v_add_f64 v[116:117], v[28:29], v[114:115]
	v_add_f64 v[178:179], v[198:199], v[114:115]
	v_fma_f64 v[198:199], v[152:153], s[0:1], v[208:209]
	v_add_f64 v[190:191], v[190:191], v[114:115]
	v_fma_f64 v[152:153], v[152:153], s[0:1], v[118:119]
	v_add_f64 v[28:29], v[6:7], -v[206:207]
	v_add_f64 v[206:207], v[0:1], v[194:195]
	v_add_f64 v[208:209], v[214:215], v[216:217]
	v_add_f64 v[194:195], v[0:1], -v[194:195]
	v_add_f64 v[6:7], v[224:225], -v[212:213]
	v_add_f64 v[212:213], v[224:225], v[212:213]
	v_add_f64 v[26:27], v[124:125], v[116:117]
	v_add_f64 v[118:119], v[116:117], -v[124:125]
	v_add_f64 v[116:117], v[4:5], v[126:127]
	v_add_f64 v[114:115], v[178:179], -v[198:199]
	v_add_f64 v[126:127], v[126:127], -v[4:5]
	v_add_f64 v[124:125], v[198:199], v[178:179]
	v_add_f64 v[4:5], v[2:3], -v[210:211]
	v_add_f64 v[198:199], v[2:3], v[210:211]
	v_add_f64 v[210:211], v[220:221], v[218:219]
	v_add_f64 v[218:219], v[220:221], -v[218:219]
	v_mul_f64 v[220:221], v[162:163], v[134:135]
	v_add_f64 v[178:179], v[214:215], -v[216:217]
	v_add_f64 v[216:217], v[136:137], v[200:201]
	v_add_f64 v[200:201], v[136:137], -v[200:201]
	ds_read2_b64 v[0:3], v235 offset0:87 offset1:136
	ds_read2_b64 v[134:137], v233 offset0:179 offset1:228
	v_fma_f64 v[162:163], v[10:11], v[162:163], v[222:223]
	v_mul_f64 v[214:215], v[150:151], v[172:173]
	v_mul_f64 v[172:173], v[148:149], v[172:173]
	v_add_f64 v[16:17], v[190:191], -v[152:153]
	v_add_f64 v[20:21], v[152:153], v[190:191]
	v_add_f64 v[228:229], v[212:213], -v[208:209]
	v_add_f64 v[224:225], v[206:207], v[210:211]
	v_fma_f64 v[160:161], v[10:11], v[160:161], -v[220:221]
	s_clause 0x3
	buffer_load_dword v8, off, s[36:39], 0 offset:224
	buffer_load_dword v9, off, s[36:39], 0 offset:228
	buffer_load_dword v10, off, s[36:39], 0 offset:232
	buffer_load_dword v11, off, s[36:39], 0 offset:236
	v_add_f64 v[220:221], v[6:7], -v[178:179]
	s_waitcnt lgkmcnt(0)
	v_mul_f64 v[222:223], v[158:159], v[136:137]
	v_mul_f64 v[136:137], v[156:157], v[136:137]
	v_add_f64 v[226:227], v[178:179], -v[4:5]
	v_add_f64 v[230:231], v[200:201], -v[218:219]
	v_add_f64 v[152:153], v[6:7], v[178:179]
	v_fma_f64 v[24:25], v[14:15], v[150:151], v[172:173]
	v_mul_f64 v[150:151], v[146:147], v[2:3]
	v_mul_f64 v[2:3], v[144:145], v[2:3]
	;; [unrolled: 1-line block ×4, first 2 shown]
	v_add_f64 v[178:179], v[200:201], v[218:219]
	v_fma_f64 v[148:149], v[14:15], v[148:149], -v[214:215]
	v_add_f64 v[214:215], v[198:199], v[208:209]
	v_add_f64 v[6:7], v[4:5], -v[6:7]
	v_add_f64 v[200:201], v[194:195], -v[200:201]
	v_add_f64 v[224:225], v[216:217], v[224:225]
	v_mul_f64 v[190:191], v[220:221], s[14:15]
	v_add_f64 v[152:153], v[4:5], v[152:153]
	v_add_f64 v[178:179], v[194:195], v[178:179]
	;; [unrolled: 1-line block ×3, first 2 shown]
	v_add_f64 v[212:213], v[198:199], -v[212:213]
	v_add_f64 v[198:199], v[208:209], -v[198:199]
	v_add_f64 v[12:13], v[180:181], v[224:225]
	v_add_f64 v[180:181], v[206:207], -v[216:217]
	v_add_f64 v[206:207], v[210:211], -v[206:207]
	s_waitcnt vmcnt(0)
	v_fma_f64 v[144:145], v[10:11], v[144:145], -v[150:151]
	v_fma_f64 v[146:147], v[10:11], v[146:147], v[2:3]
	v_fma_f64 v[164:165], v[8:9], v[164:165], -v[172:173]
	v_fma_f64 v[166:167], v[8:9], v[166:167], v[0:1]
	ds_read2_b64 v[0:3], v232 offset0:5 offset1:54
	s_clause 0x3
	buffer_load_dword v8, off, s[36:39], 0 offset:192
	buffer_load_dword v9, off, s[36:39], 0 offset:196
	;; [unrolled: 1-line block ×4, first 2 shown]
	v_add_f64 v[172:173], v[218:219], -v[194:195]
	v_add_f64 v[150:151], v[216:217], -v[210:211]
	v_mul_f64 v[216:217], v[228:229], s[16:17]
	v_fma_f64 v[194:195], v[224:225], s[6:7], v[12:13]
	v_add_f64 v[224:225], v[146:147], v[138:139]
	s_waitcnt lgkmcnt(0)
	v_mul_f64 v[4:5], v[142:143], v[2:3]
	v_mul_f64 v[2:3], v[140:141], v[2:3]
	;; [unrolled: 1-line block ×4, first 2 shown]
	v_fma_f64 v[208:209], v[212:213], s[4:5], v[216:217]
	v_mul_f64 v[212:213], v[212:213], s[4:5]
	v_fma_f64 v[220:221], v[200:201], s[22:23], -v[220:221]
	v_fma_f64 v[210:211], v[180:181], s[4:5], v[150:151]
	v_mul_f64 v[180:181], v[180:181], s[4:5]
	v_fma_f64 v[150:151], v[206:207], s[20:21], -v[150:151]
	v_fma_f64 v[220:221], v[178:179], s[0:1], v[220:221]
	v_add_f64 v[210:211], v[210:211], v[194:195]
	s_waitcnt vmcnt(0)
	v_fma_f64 v[156:157], v[10:11], v[156:157], -v[222:223]
	v_fma_f64 v[136:137], v[10:11], v[158:159], v[136:137]
	buffer_load_dword v10, off, s[36:39], 0 ; 4-byte Folded Reload
	v_mul_f64 v[158:159], v[226:227], s[18:19]
	v_mul_f64 v[222:223], v[230:231], s[14:15]
	v_add_f64 v[228:229], v[204:205], v[136:137]
	v_add_f64 v[204:205], v[204:205], -v[136:137]
	v_fma_f64 v[158:159], v[6:7], s[22:23], -v[158:159]
	v_fma_f64 v[6:7], v[6:7], s[8:9], v[190:191]
	v_fma_f64 v[200:201], v[200:201], s[8:9], v[222:223]
	v_fma_f64 v[190:191], v[226:227], s[18:19], -v[190:191]
	v_mul_f64 v[226:227], v[188:189], v[0:1]
	v_mul_f64 v[0:1], v[186:187], v[0:1]
	v_fma_f64 v[158:159], v[152:153], s[0:1], v[158:159]
	v_fma_f64 v[230:231], v[152:153], s[0:1], v[6:7]
	v_fma_f64 v[6:7], v[206:207], s[24:25], -v[180:181]
	v_fma_f64 v[180:181], v[198:199], s[24:25], -v[212:213]
	;; [unrolled: 1-line block ×3, first 2 shown]
	v_add_f64 v[212:213], v[192:193], -v[156:157]
	v_add_f64 v[156:157], v[192:193], v[156:157]
	v_add_f64 v[192:193], v[144:145], v[202:203]
	v_add_f64 v[202:203], v[144:145], -v[202:203]
	v_fma_f64 v[200:201], v[178:179], s[0:1], v[200:201]
	v_mul_f64 v[216:217], v[170:171], v[134:135]
	v_mul_f64 v[134:135], v[168:169], v[134:135]
	v_fma_f64 v[168:169], v[8:9], v[168:169], -v[216:217]
	v_fma_f64 v[170:171], v[8:9], v[170:171], v[134:135]
	v_add_f64 v[134:135], v[192:193], v[156:157]
	s_waitcnt vmcnt(0)
	ds_read_b64 v[218:219], v10
	s_clause 0x5
	buffer_load_dword v10, off, s[36:39], 0 offset:108
	buffer_load_dword v11, off, s[36:39], 0 offset:112
	;; [unrolled: 1-line block ×6, first 2 shown]
	s_waitcnt vmcnt(4)
	v_add_f64 v[10:11], v[10:11], v[214:215]
	s_waitcnt vmcnt(0)
	v_fma_f64 v[140:141], v[237:238], v[140:141], -v[4:5]
	v_fma_f64 v[142:143], v[237:238], v[142:143], v[2:3]
	v_mul_f64 v[2:3], v[184:185], v[128:129]
	v_mul_f64 v[4:5], v[182:183], v[128:129]
	v_fma_f64 v[128:129], v[172:173], s[18:19], -v[222:223]
	v_fma_f64 v[186:187], v[235:236], v[186:187], -v[226:227]
	v_fma_f64 v[0:1], v[235:236], v[188:189], v[0:1]
	v_add_f64 v[172:173], v[224:225], v[228:229]
	v_fma_f64 v[214:215], v[214:215], s[6:7], v[10:11]
	v_add_f64 v[206:207], v[148:149], -v[140:141]
	v_add_f64 v[148:149], v[148:149], v[140:141]
	v_add_f64 v[140:141], v[150:151], v[194:195]
	v_fma_f64 v[150:151], v[152:153], s[0:1], v[190:191]
	v_fma_f64 v[128:129], v[178:179], s[0:1], v[128:129]
	;; [unrolled: 1-line block ×3, first 2 shown]
	v_add_f64 v[184:185], v[6:7], v[194:195]
	v_mul_f64 v[6:7], v[176:177], v[122:123]
	v_mul_f64 v[122:123], v[174:175], v[122:123]
	v_add_f64 v[222:223], v[24:25], v[142:143]
	v_add_f64 v[24:25], v[24:25], -v[142:143]
	v_fma_f64 v[182:183], v[241:242], v[182:183], -v[2:3]
	v_add_f64 v[4:5], v[230:231], v[210:211]
	v_add_f64 v[190:191], v[198:199], v[214:215]
	v_add_f64 v[144:145], v[206:207], -v[212:213]
	v_add_f64 v[178:179], v[202:203], -v[206:207]
	v_add_f64 v[198:199], v[206:207], v[212:213]
	ds_read_b64 v[206:207], v234
	v_add_f64 v[234:235], v[146:147], -v[138:139]
	s_clause 0x1
	buffer_load_dword v146, off, s[36:39], 0 offset:100
	buffer_load_dword v147, off, s[36:39], 0 offset:104
	v_add_f64 v[208:209], v[208:209], v[214:215]
	v_add_f64 v[226:227], v[148:149], v[134:135]
	v_fma_f64 v[122:123], v[239:240], v[176:177], v[122:123]
	v_add_f64 v[172:173], v[222:223], v[172:173]
	v_add_f64 v[136:137], v[140:141], -v[150:151]
	v_add_f64 v[140:141], v[150:151], v[140:141]
	v_add_f64 v[232:233], v[148:149], -v[156:157]
	v_add_f64 v[8:9], v[222:223], -v[228:229]
	v_add_f64 v[216:217], v[14:15], v[170:171]
	v_add_f64 v[14:15], v[14:15], -v[170:171]
	v_add_f64 v[180:181], v[180:181], v[214:215]
	v_fma_f64 v[174:175], v[239:240], v[174:175], -v[6:7]
	v_add_f64 v[214:215], v[166:167], v[162:163]
	v_add_f64 v[176:177], v[164:165], v[160:161]
	v_add_f64 v[188:189], v[182:183], v[168:169]
	v_add_f64 v[134:135], v[128:129], v[190:191]
	v_add_f64 v[138:139], v[190:191], -v[128:129]
	v_add_f64 v[128:129], v[24:25], -v[204:205]
	v_mul_f64 v[194:195], v[144:145], s[14:15]
	v_add_f64 v[144:145], v[184:185], -v[158:159]
	v_add_f64 v[170:171], v[234:235], -v[24:25]
	;; [unrolled: 1-line block ×5, first 2 shown]
	v_add_f64 v[190:191], v[122:123], v[0:1]
	v_add_f64 v[0:1], v[122:123], -v[0:1]
	v_add_f64 v[122:123], v[192:193], -v[148:149]
	;; [unrolled: 1-line block ×3, first 2 shown]
	s_clause 0x1
	buffer_load_dword v156, off, s[36:39], 0 offset:92
	buffer_load_dword v157, off, s[36:39], 0 offset:96
	s_waitcnt lgkmcnt(1)
	v_add_f64 v[152:153], v[218:219], v[172:173]
	v_add_f64 v[218:219], v[224:225], -v[222:223]
	v_add_f64 v[224:225], v[228:229], -v[224:225]
	v_mul_f64 v[222:223], v[8:9], s[16:17]
	v_add_f64 v[8:9], v[158:159], v[184:185]
	v_add_f64 v[6:7], v[180:181], -v[220:221]
	v_add_f64 v[142:143], v[220:221], v[180:181]
	v_add_f64 v[180:181], v[202:203], v[198:199]
	v_add_f64 v[184:185], v[174:175], -v[186:187]
	v_add_f64 v[182:183], v[214:215], v[216:217]
	v_mul_f64 v[128:129], v[128:129], s[14:15]
	v_fma_f64 v[158:159], v[178:179], s[8:9], v[194:195]
	v_add_f64 v[198:199], v[176:177], v[188:189]
	v_add_f64 v[174:175], v[174:175], v[186:187]
	v_add_f64 v[160:161], v[164:165], -v[160:161]
	v_add_f64 v[166:167], v[212:213], -v[202:203]
	v_add_f64 v[24:25], v[24:25], v[204:205]
	v_add_f64 v[148:149], v[210:211], -v[230:231]
	v_add_f64 v[212:213], v[0:1], -v[14:15]
	v_add_f64 v[230:231], v[14:15], -v[162:163]
	v_mul_f64 v[164:165], v[232:233], s[16:17]
	v_add_f64 v[241:242], v[162:163], -v[0:1]
	v_add_f64 v[0:1], v[0:1], v[14:15]
	v_fma_f64 v[172:173], v[172:173], s[6:7], v[152:153]
	v_fma_f64 v[186:187], v[218:219], s[4:5], v[222:223]
	v_fma_f64 v[222:223], v[224:225], s[20:21], -v[222:223]
	v_add_f64 v[182:183], v[190:191], v[182:183]
	v_fma_f64 v[236:237], v[170:171], s[8:9], v[128:129]
	v_fma_f64 v[202:203], v[180:181], s[0:1], v[158:159]
	v_add_f64 v[158:159], v[184:185], -v[168:169]
	v_add_f64 v[198:199], v[174:175], v[198:199]
	v_add_f64 v[210:211], v[176:177], -v[174:175]
	v_add_f64 v[174:175], v[174:175], -v[188:189]
	;; [unrolled: 1-line block ×3, first 2 shown]
	v_mul_f64 v[232:233], v[166:167], s[18:19]
	v_add_f64 v[24:25], v[234:235], v[24:25]
	v_add_f64 v[168:169], v[184:185], v[168:169]
	v_mul_f64 v[212:213], v[212:213], s[14:15]
	v_add_f64 v[176:177], v[188:189], -v[176:177]
	v_mul_f64 v[188:189], v[230:231], s[18:19]
	v_fma_f64 v[166:167], v[166:167], s[18:19], -v[194:195]
	v_add_f64 v[0:1], v[162:163], v[0:1]
	v_add_f64 v[186:187], v[186:187], v[172:173]
	v_mul_f64 v[239:240], v[158:159], s[14:15]
	s_waitcnt lgkmcnt(0)
	v_add_f64 v[158:159], v[206:207], v[182:183]
	v_mul_f64 v[206:207], v[210:211], s[4:5]
	v_mul_f64 v[174:175], v[174:175], s[16:17]
	;; [unrolled: 1-line block ×3, first 2 shown]
	v_fma_f64 v[178:179], v[178:179], s[22:23], -v[232:233]
	v_fma_f64 v[188:189], v[241:242], s[22:23], -v[188:189]
	v_add_f64 v[162:163], v[202:203], v[186:187]
	v_fma_f64 v[206:207], v[176:177], s[24:25], -v[206:207]
	v_fma_f64 v[178:179], v[180:181], s[0:1], v[178:179]
	v_fma_f64 v[180:181], v[180:181], s[0:1], v[166:167]
	s_waitcnt vmcnt(2)
	v_add_f64 v[150:151], v[146:147], v[226:227]
	v_add_f64 v[146:147], v[200:201], v[208:209]
	v_add_f64 v[200:201], v[204:205], -v[234:235]
	v_add_f64 v[208:209], v[214:215], -v[190:191]
	;; [unrolled: 1-line block ×3, first 2 shown]
	v_mul_f64 v[204:205], v[218:219], s[4:5]
	v_add_f64 v[234:235], v[160:161], -v[184:185]
	v_add_f64 v[214:215], v[216:217], -v[214:215]
	v_add_f64 v[160:161], v[160:161], v[168:169]
	v_fma_f64 v[168:169], v[182:183], s[6:7], v[158:159]
	v_fma_f64 v[216:217], v[24:25], s[0:1], v[236:237]
	;; [unrolled: 1-line block ×3, first 2 shown]
	v_mul_f64 v[226:227], v[122:123], s[4:5]
	v_mul_f64 v[228:229], v[200:201], s[18:19]
	;; [unrolled: 1-line block ×4, first 2 shown]
	v_fma_f64 v[122:123], v[122:123], s[4:5], v[164:165]
	v_fma_f64 v[164:165], v[192:193], s[20:21], -v[164:165]
	s_waitcnt vmcnt(0)
	v_add_f64 v[156:157], v[156:157], v[198:199]
	v_fma_f64 v[204:205], v[224:225], s[24:25], -v[204:205]
	v_fma_f64 v[128:129], v[200:201], s[18:19], -v[128:129]
	v_fma_f64 v[200:201], v[241:242], s[8:9], v[212:213]
	v_fma_f64 v[14:15], v[234:235], s[22:23], -v[14:15]
	v_fma_f64 v[226:227], v[192:193], s[24:25], -v[226:227]
	;; [unrolled: 1-line block ×3, first 2 shown]
	buffer_load_dword v229, off, s[36:39], 0 offset:464 ; 4-byte Folded Reload
	v_fma_f64 v[192:193], v[234:235], s[8:9], v[239:240]
	v_fma_f64 v[182:183], v[208:209], s[4:5], v[190:191]
	v_fma_f64 v[190:191], v[214:215], s[20:21], -v[190:191]
	v_fma_f64 v[194:195], v[198:199], s[6:7], v[156:157]
	v_fma_f64 v[198:199], v[210:211], s[4:5], v[174:175]
	v_fma_f64 v[208:209], v[220:221], s[18:19], -v[239:240]
	v_fma_f64 v[174:175], v[176:177], s[20:21], -v[174:175]
	;; [unrolled: 1-line block ×4, first 2 shown]
	v_add_f64 v[214:215], v[164:165], v[218:219]
	v_add_f64 v[204:205], v[204:205], v[172:173]
	;; [unrolled: 1-line block ×4, first 2 shown]
	v_fma_f64 v[222:223], v[0:1], s[0:1], v[200:201]
	v_fma_f64 v[14:15], v[160:161], s[0:1], v[14:15]
	v_add_f64 v[210:211], v[226:227], v[218:219]
	v_fma_f64 v[212:213], v[24:25], s[0:1], v[170:171]
	v_fma_f64 v[24:25], v[24:25], s[0:1], v[128:129]
	;; [unrolled: 1-line block ×3, first 2 shown]
	v_add_f64 v[218:219], v[182:183], v[168:169]
	v_fma_f64 v[226:227], v[0:1], s[0:1], v[188:189]
	v_add_f64 v[206:207], v[206:207], v[194:195]
	v_add_f64 v[220:221], v[198:199], v[194:195]
	;; [unrolled: 1-line block ×3, first 2 shown]
	v_fma_f64 v[200:201], v[160:161], s[0:1], v[208:209]
	v_add_f64 v[208:209], v[174:175], v[194:195]
	v_fma_f64 v[0:1], v[0:1], s[0:1], v[176:177]
	v_add_f64 v[224:225], v[184:185], v[168:169]
	v_add_f64 v[182:183], v[186:187], -v[202:203]
	v_add_f64 v[170:171], v[172:173], -v[180:181]
	v_add_f64 v[174:175], v[180:181], v[172:173]
	v_add_f64 v[160:161], v[122:123], -v[216:217]
	v_add_f64 v[180:181], v[216:217], v[122:123]
	v_add_f64 v[166:167], v[178:179], v[204:205]
	v_add_f64 v[178:179], v[204:205], -v[178:179]
	v_add_f64 v[176:177], v[212:213], v[210:211]
	v_add_f64 v[172:173], v[214:215], -v[24:25]
	;; [unrolled: 2-line block ×3, first 2 shown]
	v_add_f64 v[202:203], v[226:227], v[206:207]
	v_add_f64 v[206:207], v[222:223], v[220:221]
	v_add_f64 v[194:195], v[198:199], -v[200:201]
	v_add_f64 v[200:201], v[200:201], v[198:199]
	v_add_f64 v[192:193], v[0:1], v[208:209]
	v_add_f64 v[198:199], v[208:209], -v[0:1]
	v_add_f64 v[208:209], v[218:219], -v[128:129]
	v_add_f64 v[190:191], v[14:15], v[224:225]
	v_add_f64 v[204:205], v[224:225], -v[14:15]
	v_lshlrev_b64 v[0:1], 4, v[154:155]
	v_add_f64 v[184:185], v[220:221], -v[222:223]
	s_waitcnt vmcnt(0)
	v_mul_hi_u32 v164, 0xbf112a8b, v229
	v_lshrrev_b32_e32 v164, 8, v164
	v_mul_u32_u24_e32 v168, 0x157, v164
	v_add_f64 v[164:165], v[210:211], -v[212:213]
	v_add_co_u32 v211, vcc_lo, s10, v0
	v_add_co_ci_u32_e32 v212, vcc_lo, s11, v1, vcc_lo
	v_sub_nc_u32_e32 v228, v229, v168
	v_add_f64 v[168:169], v[24:25], v[214:215]
	v_lshlrev_b64 v[0:1], 4, v[196:197]
	v_mad_u64_u32 v[24:25], null, s2, v228, 0
	v_add_nc_u32_e32 v128, 0x157, v228
	v_add_nc_u32_e32 v210, 0x2ae, v228
	;; [unrolled: 1-line block ×3, first 2 shown]
	v_add_co_u32 v0, vcc_lo, v211, v0
	v_mad_u64_u32 v[14:15], null, s2, v128, 0
	v_mad_u64_u32 v[122:123], null, s3, v228, v[25:26]
	;; [unrolled: 1-line block ×3, first 2 shown]
	v_add_co_ci_u32_e32 v1, vcc_lo, v212, v1, vcc_lo
	v_mad_u64_u32 v[128:129], null, s3, v128, v[15:16]
	v_mov_b32_e32 v25, v122
	v_mad_u64_u32 v[122:123], null, s2, v210, 0
	v_add_nc_u32_e32 v212, 0x6b3, v228
	v_lshlrev_b64 v[24:25], 4, v[24:25]
	v_mov_b32_e32 v15, v128
	v_mov_b32_e32 v128, v197
	v_mad_u64_u32 v[154:155], null, s3, v210, v[123:124]
	v_add_nc_u32_e32 v210, 0x55c, v228
	v_lshlrev_b64 v[14:15], 4, v[14:15]
	v_mad_u64_u32 v[128:129], null, s3, v213, v[128:129]
	v_add_co_u32 v24, vcc_lo, v0, v24
	v_mov_b32_e32 v123, v154
	v_mad_u64_u32 v[154:155], null, s2, v210, 0
	v_add_nc_u32_e32 v213, 49, v229
	v_add_co_ci_u32_e32 v25, vcc_lo, v1, v25, vcc_lo
	v_lshlrev_b64 v[122:123], 4, v[122:123]
	v_add_co_u32 v14, vcc_lo, v0, v14
	v_mov_b32_e32 v129, v155
	v_add_co_ci_u32_e32 v15, vcc_lo, v1, v15, vcc_lo
	v_mov_b32_e32 v197, v128
	v_add_co_u32 v122, vcc_lo, v0, v122
	v_mad_u64_u32 v[128:129], null, s3, v210, v[129:130]
	v_mul_hi_u32 v129, 0xbf112a8b, v213
	v_add_co_ci_u32_e32 v123, vcc_lo, v1, v123, vcc_lo
	v_mad_u64_u32 v[210:211], null, s2, v212, 0
	global_store_dwordx4 v[24:25], v[156:159], off
	global_store_dwordx4 v[14:15], v[206:209], off
	;; [unrolled: 1-line block ×3, first 2 shown]
	v_add_nc_u32_e32 v156, 0x80a, v228
	v_mov_b32_e32 v155, v128
	v_lshrrev_b32_e32 v157, 8, v129
	v_lshlrev_b64 v[14:15], 4, v[196:197]
	v_mad_u64_u32 v[122:123], null, s2, v156, 0
	v_mov_b32_e32 v24, v211
	v_mul_u32_u24_e32 v128, 0x157, v157
	v_add_co_u32 v14, vcc_lo, v0, v14
	v_add_co_ci_u32_e32 v15, vcc_lo, v1, v15, vcc_lo
	v_mad_u64_u32 v[24:25], null, s3, v212, v[24:25]
	v_mov_b32_e32 v25, v123
	v_sub_nc_u32_e32 v123, v213, v128
	v_lshlrev_b64 v[128:129], 4, v[154:155]
	v_mad_u32_u24 v204, 0x961, v157, v123
	v_mov_b32_e32 v211, v24
	v_mad_u64_u32 v[24:25], null, s3, v156, v[25:26]
	v_add_co_u32 v128, vcc_lo, v0, v128
	v_add_nc_u32_e32 v202, 0x157, v204
	v_lshlrev_b64 v[154:155], 4, v[210:211]
	v_mad_u64_u32 v[156:157], null, s2, v204, 0
	v_add_co_ci_u32_e32 v129, vcc_lo, v1, v129, vcc_lo
	v_mad_u64_u32 v[158:159], null, s2, v202, 0
	v_mov_b32_e32 v123, v24
	v_add_co_u32 v24, vcc_lo, v0, v154
	v_add_co_ci_u32_e32 v25, vcc_lo, v1, v155, vcc_lo
	v_mov_b32_e32 v154, v157
	v_mov_b32_e32 v155, v159
	v_add_nc_u32_e32 v205, 0x2ae, v204
	v_lshlrev_b64 v[122:123], 4, v[122:123]
	global_store_dwordx4 v[14:15], v[198:201], off
	global_store_dwordx4 v[128:129], v[192:195], off
	v_mad_u64_u32 v[196:197], null, s3, v204, v[154:155]
	v_mad_u64_u32 v[154:155], null, s3, v202, v[155:156]
	;; [unrolled: 1-line block ×3, first 2 shown]
	v_add_co_u32 v122, vcc_lo, v0, v122
	v_add_co_ci_u32_e32 v123, vcc_lo, v1, v123, vcc_lo
	v_mov_b32_e32 v157, v196
	global_store_dwordx4 v[24:25], v[188:191], off
	global_store_dwordx4 v[122:123], v[184:187], off
	v_mov_b32_e32 v14, v203
	v_add_nc_u32_e32 v184, 0x405, v204
	v_mov_b32_e32 v159, v154
	v_lshlrev_b64 v[24:25], 4, v[156:157]
	v_add_nc_u32_e32 v185, 0x55c, v204
	v_mad_u64_u32 v[14:15], null, s3, v205, v[14:15]
	v_mad_u64_u32 v[128:129], null, s2, v184, 0
	v_lshlrev_b64 v[122:123], 4, v[158:159]
	v_add_co_u32 v24, vcc_lo, v0, v24
	v_mad_u64_u32 v[156:157], null, s2, v185, 0
	v_mov_b32_e32 v203, v14
	v_add_co_ci_u32_e32 v25, vcc_lo, v1, v25, vcc_lo
	v_add_co_u32 v14, vcc_lo, v0, v122
	v_mov_b32_e32 v122, v129
	v_add_nc_u32_e32 v187, 0x62, v229
	v_lshlrev_b64 v[154:155], 4, v[202:203]
	v_add_nc_u32_e32 v186, 0x6b3, v204
	v_add_co_ci_u32_e32 v15, vcc_lo, v1, v123, vcc_lo
	v_mad_u64_u32 v[122:123], null, s3, v184, v[122:123]
	v_mov_b32_e32 v123, v157
	v_mul_hi_u32 v157, 0xbf112a8b, v187
	v_mad_u64_u32 v[158:159], null, s2, v186, 0
	v_add_co_u32 v154, vcc_lo, v0, v154
	v_add_co_ci_u32_e32 v155, vcc_lo, v1, v155, vcc_lo
	v_mov_b32_e32 v129, v122
	global_store_dwordx4 v[24:25], v[150:153], off
	global_store_dwordx4 v[14:15], v[180:183], off
	;; [unrolled: 1-line block ×3, first 2 shown]
	v_lshrrev_b32_e32 v150, 8, v157
	v_mov_b32_e32 v24, v159
	v_mad_u64_u32 v[184:185], null, s3, v185, v[123:124]
	v_lshlrev_b64 v[14:15], 4, v[128:129]
	v_mul_u32_u24_e32 v128, 0x157, v150
	v_add_nc_u32_e32 v154, 0x80a, v204
	v_mad_u64_u32 v[24:25], null, s3, v186, v[24:25]
	v_sub_nc_u32_e32 v25, v187, v128
	v_mad_u64_u32 v[122:123], null, s2, v154, 0
	v_mov_b32_e32 v157, v184
	v_add_co_u32 v14, vcc_lo, v0, v14
	v_mad_u32_u24 v176, 0x961, v150, v25
	v_mov_b32_e32 v159, v24
	v_lshlrev_b64 v[128:129], 4, v[156:157]
	v_mov_b32_e32 v24, v123
	v_add_co_ci_u32_e32 v15, vcc_lo, v1, v15, vcc_lo
	v_mad_u64_u32 v[150:151], null, s2, v176, 0
	v_lshlrev_b64 v[152:153], 4, v[158:159]
	v_add_nc_u32_e32 v158, 0x157, v176
	v_add_co_u32 v128, vcc_lo, v0, v128
	v_mad_u64_u32 v[24:25], null, s3, v154, v[24:25]
	v_mad_u64_u32 v[154:155], null, s2, v158, 0
	v_add_co_ci_u32_e32 v129, vcc_lo, v1, v129, vcc_lo
	v_mov_b32_e32 v25, v151
	v_add_co_u32 v151, vcc_lo, v0, v152
	v_add_co_ci_u32_e32 v152, vcc_lo, v1, v153, vcc_lo
	global_store_dwordx4 v[14:15], v[172:175], off
	global_store_dwordx4 v[128:129], v[168:171], off
	;; [unrolled: 1-line block ×3, first 2 shown]
	v_mov_b32_e32 v14, v155
	v_mad_u64_u32 v[156:157], null, s3, v176, v[25:26]
	v_mov_b32_e32 v123, v24
	v_add_nc_u32_e32 v157, 0x2ae, v176
	v_mad_u64_u32 v[14:15], null, s3, v158, v[14:15]
	v_lshlrev_b64 v[24:25], 4, v[122:123]
	v_mad_u64_u32 v[122:123], null, s2, v157, 0
	v_mov_b32_e32 v151, v156
	v_add_nc_u32_e32 v156, 0x405, v176
	v_mov_b32_e32 v155, v14
	v_add_co_u32 v24, vcc_lo, v0, v24
	v_lshlrev_b64 v[128:129], 4, v[150:151]
	v_mov_b32_e32 v14, v123
	v_mad_u64_u32 v[150:151], null, s2, v156, 0
	v_lshlrev_b64 v[152:153], 4, v[154:155]
	v_add_co_ci_u32_e32 v25, vcc_lo, v1, v25, vcc_lo
	v_mad_u64_u32 v[14:15], null, s3, v157, v[14:15]
	v_add_co_u32 v128, vcc_lo, v0, v128
	v_add_nc_u32_e32 v157, 0x55c, v176
	v_add_co_ci_u32_e32 v129, vcc_lo, v1, v129, vcc_lo
	v_mov_b32_e32 v15, v151
	v_add_co_u32 v151, vcc_lo, v0, v152
	v_add_co_ci_u32_e32 v152, vcc_lo, v1, v153, vcc_lo
	v_mad_u64_u32 v[153:154], null, s2, v157, 0
	global_store_dwordx4 v[24:25], v[160:163], off
	v_add_nc_u32_e32 v24, 0x93, v229
	v_mov_b32_e32 v123, v14
	v_mad_u64_u32 v[155:156], null, s3, v156, v[15:16]
	global_store_dwordx4 v[128:129], v[10:13], off
	v_mul_hi_u32 v15, 0xbf112a8b, v24
	v_lshlrev_b64 v[11:12], 4, v[122:123]
	v_mov_b32_e32 v10, v154
	global_store_dwordx4 v[151:152], v[146:149], off
	v_add_nc_u32_e32 v128, 0x6b3, v176
	v_mov_b32_e32 v151, v155
	v_mad_u64_u32 v[13:14], null, s3, v157, v[10:11]
	v_lshrrev_b32_e32 v129, 8, v15
	v_lshlrev_b64 v[14:15], 4, v[150:151]
	v_add_co_u32 v10, vcc_lo, v0, v11
	v_add_nc_u32_e32 v150, 0x80a, v176
	v_mul_u32_u24_e32 v25, 0x157, v129
	v_add_co_ci_u32_e32 v11, vcc_lo, v1, v12, vcc_lo
	v_mov_b32_e32 v154, v13
	v_mad_u64_u32 v[12:13], null, s2, v128, 0
	v_add_co_u32 v14, vcc_lo, v0, v14
	v_sub_nc_u32_e32 v146, v24, v25
	v_mad_u64_u32 v[122:123], null, s2, v150, 0
	v_lshlrev_b64 v[24:25], 4, v[153:154]
	v_add_co_ci_u32_e32 v15, vcc_lo, v1, v15, vcc_lo
	v_mad_u32_u24 v152, 0x961, v129, v146
	v_mad_u64_u32 v[128:129], null, s3, v128, v[13:14]
	v_mov_b32_e32 v13, v123
	v_add_co_u32 v24, vcc_lo, v0, v24
	v_mad_u64_u32 v[146:147], null, s2, v152, 0
	v_mad_u64_u32 v[150:151], null, s3, v150, v[13:14]
	v_mov_b32_e32 v13, v128
	v_add_nc_u32_e32 v129, 0x157, v152
	v_add_co_ci_u32_e32 v25, vcc_lo, v1, v25, vcc_lo
	global_store_dwordx4 v[10:11], v[142:145], off
	global_store_dwordx4 v[14:15], v[138:141], off
	;; [unrolled: 1-line block ×3, first 2 shown]
	v_lshlrev_b64 v[11:12], 4, v[12:13]
	v_mad_u64_u32 v[148:149], null, s2, v129, 0
	v_mov_b32_e32 v10, v147
	v_add_nc_u32_e32 v134, 0x2ae, v152
	v_add_nc_u32_e32 v136, 0x405, v152
	v_mov_b32_e32 v123, v150
	v_mad_u64_u32 v[14:15], null, s3, v152, v[10:11]
	v_mov_b32_e32 v13, v149
	v_add_co_u32 v10, vcc_lo, v0, v11
	v_add_co_ci_u32_e32 v11, vcc_lo, v1, v12, vcc_lo
	v_mad_u64_u32 v[24:25], null, s3, v129, v[13:14]
	v_mov_b32_e32 v147, v14
	v_mad_u64_u32 v[14:15], null, s2, v134, 0
	v_mad_u64_u32 v[128:129], null, s2, v136, 0
	v_lshlrev_b64 v[12:13], 4, v[122:123]
	v_mov_b32_e32 v149, v24
	v_lshlrev_b64 v[24:25], 4, v[146:147]
	v_mad_u64_u32 v[134:135], null, s3, v134, v[15:16]
	v_add_co_u32 v12, vcc_lo, v0, v12
	v_lshlrev_b64 v[122:123], 4, v[148:149]
	v_mov_b32_e32 v15, v129
	v_add_co_ci_u32_e32 v13, vcc_lo, v1, v13, vcc_lo
	v_add_co_u32 v24, vcc_lo, v0, v24
	v_add_co_ci_u32_e32 v25, vcc_lo, v1, v25, vcc_lo
	v_mad_u64_u32 v[135:136], null, s3, v136, v[15:16]
	v_mov_b32_e32 v15, v134
	v_add_co_u32 v122, vcc_lo, v0, v122
	v_add_co_ci_u32_e32 v123, vcc_lo, v1, v123, vcc_lo
	global_store_dwordx4 v[10:11], v[6:9], off
	global_store_dwordx4 v[12:13], v[2:5], off
	;; [unrolled: 1-line block ×4, first 2 shown]
	v_lshlrev_b64 v[2:3], 4, v[14:15]
	v_add_nc_u32_e32 v10, 0x55c, v152
	v_add_nc_u32_e32 v13, 0x6b3, v152
	;; [unrolled: 1-line block ×3, first 2 shown]
	v_mov_b32_e32 v129, v135
	v_add_nc_u32_e32 v20, 0x80a, v152
	v_mad_u64_u32 v[4:5], null, s2, v10, 0
	v_mad_u64_u32 v[6:7], null, s2, v13, 0
	v_mul_hi_u32 v11, 0xbf112a8b, v15
	v_lshlrev_b64 v[8:9], 4, v[128:129]
	v_add_co_u32 v2, vcc_lo, v0, v2
	v_add_co_ci_u32_e32 v3, vcc_lo, v1, v3, vcc_lo
	v_lshrrev_b32_e32 v21, 8, v11
	v_mad_u64_u32 v[10:11], null, s3, v10, v[5:6]
	v_mov_b32_e32 v5, v7
	v_mad_u64_u32 v[11:12], null, s2, v20, 0
	v_mul_u32_u24_e32 v22, 0x157, v21
	v_add_co_u32 v7, vcc_lo, v0, v8
	v_mad_u64_u32 v[13:14], null, s3, v13, v[5:6]
	v_mov_b32_e32 v5, v10
	v_add_co_ci_u32_e32 v8, vcc_lo, v1, v9, vcc_lo
	v_sub_nc_u32_e32 v9, v15, v22
	global_store_dwordx4 v[2:3], v[124:127], off
	global_store_dwordx4 v[7:8], v[118:121], off
	v_lshlrev_b64 v[3:4], 4, v[4:5]
	v_mov_b32_e32 v2, v12
	v_mad_u32_u24 v24, 0x961, v21, v9
	v_mov_b32_e32 v7, v13
	v_mad_u64_u32 v[8:9], null, s3, v20, v[2:3]
	v_mad_u64_u32 v[9:10], null, s2, v24, 0
	v_add_nc_u32_e32 v15, 0x157, v24
	v_add_co_u32 v2, vcc_lo, v0, v3
	v_add_co_ci_u32_e32 v3, vcc_lo, v1, v4, vcc_lo
	v_lshlrev_b64 v[4:5], 4, v[6:7]
	v_mov_b32_e32 v12, v8
	v_mad_u64_u32 v[7:8], null, s2, v15, 0
	v_mov_b32_e32 v6, v10
	v_add_nc_u32_e32 v25, 0x2ae, v24
	v_lshlrev_b64 v[10:11], 4, v[11:12]
	v_add_co_u32 v4, vcc_lo, v0, v4
	v_add_co_ci_u32_e32 v5, vcc_lo, v1, v5, vcc_lo
	v_mad_u64_u32 v[12:13], null, s3, v24, v[6:7]
	v_mov_b32_e32 v6, v8
	v_mad_u64_u32 v[13:14], null, s2, v25, 0
	v_add_co_u32 v20, vcc_lo, v0, v10
	v_mad_u64_u32 v[22:23], null, s3, v15, v[6:7]
	v_mov_b32_e32 v10, v12
	v_add_co_ci_u32_e32 v21, vcc_lo, v1, v11, vcc_lo
	global_store_dwordx4 v[2:3], v[26:29], off
	global_store_dwordx4 v[4:5], v[114:117], off
	;; [unrolled: 1-line block ×3, first 2 shown]
	v_lshlrev_b64 v[3:4], 4, v[9:10]
	v_mov_b32_e32 v2, v14
	v_add_nc_u32_e32 v15, 0x405, v24
	v_mov_b32_e32 v8, v22
	v_add_nc_u32_e32 v16, 0x55c, v24
	v_add_nc_u32_e32 v17, 0xf5, v229
	v_mad_u64_u32 v[5:6], null, s3, v25, v[2:3]
	v_mad_u64_u32 v[9:10], null, s2, v15, 0
	v_lshlrev_b64 v[6:7], 4, v[7:8]
	v_add_co_u32 v2, vcc_lo, v0, v3
	v_mad_u64_u32 v[11:12], null, s2, v16, 0
	v_add_co_ci_u32_e32 v3, vcc_lo, v1, v4, vcc_lo
	v_mov_b32_e32 v14, v5
	v_mov_b32_e32 v4, v10
	v_add_co_u32 v5, vcc_lo, v0, v6
	v_add_co_ci_u32_e32 v6, vcc_lo, v1, v7, vcc_lo
	v_lshlrev_b64 v[7:8], 4, v[13:14]
	v_mad_u64_u32 v[13:14], null, s3, v15, v[4:5]
	v_mov_b32_e32 v4, v12
	v_mul_hi_u32 v12, 0xbf112a8b, v17
	global_store_dwordx4 v[2:3], v[86:89], off
	v_add_co_u32 v7, vcc_lo, v0, v7
	v_mad_u64_u32 v[14:15], null, s3, v16, v[4:5]
	v_mov_b32_e32 v10, v13
	v_add_nc_u32_e32 v13, 0x6b3, v24
	v_add_co_ci_u32_e32 v8, vcc_lo, v1, v8, vcc_lo
	v_lshrrev_b32_e32 v15, 8, v12
	global_store_dwordx4 v[5:6], v[110:113], off
	global_store_dwordx4 v[7:8], v[106:109], off
	v_mov_b32_e32 v12, v14
	v_mad_u64_u32 v[4:5], null, s2, v13, 0
	v_mul_u32_u24_e32 v8, 0x157, v15
	v_add_nc_u32_e32 v14, 0x80a, v24
	v_lshlrev_b64 v[6:7], 4, v[11:12]
	v_lshlrev_b64 v[2:3], 4, v[9:10]
	v_sub_nc_u32_e32 v12, v17, v8
	v_mad_u64_u32 v[8:9], null, s2, v14, 0
	v_mad_u64_u32 v[10:11], null, s3, v13, v[5:6]
	v_add_co_u32 v2, vcc_lo, v0, v2
	v_mad_u32_u24 v15, 0x961, v15, v12
	v_add_co_ci_u32_e32 v3, vcc_lo, v1, v3, vcc_lo
	v_add_co_u32 v6, vcc_lo, v0, v6
	v_mov_b32_e32 v5, v10
	v_mad_u64_u32 v[9:10], null, s3, v14, v[9:10]
	v_add_co_ci_u32_e32 v7, vcc_lo, v1, v7, vcc_lo
	v_mad_u64_u32 v[11:12], null, s2, v15, 0
	v_add_nc_u32_e32 v10, 0x157, v15
	global_store_dwordx4 v[2:3], v[102:105], off
	global_store_dwordx4 v[6:7], v[98:101], off
	v_lshlrev_b64 v[2:3], 4, v[4:5]
	v_add_nc_u32_e32 v14, 0x405, v15
	v_mad_u64_u32 v[5:6], null, s2, v10, 0
	v_mov_b32_e32 v4, v12
	v_add_nc_u32_e32 v17, 0x6b3, v15
	v_add_co_u32 v2, vcc_lo, v0, v2
	v_add_co_ci_u32_e32 v3, vcc_lo, v1, v3, vcc_lo
	v_mad_u64_u32 v[12:13], null, s3, v15, v[4:5]
	v_mov_b32_e32 v4, v6
	v_lshlrev_b64 v[6:7], 4, v[8:9]
	v_add_nc_u32_e32 v13, 0x2ae, v15
	global_store_dwordx4 v[2:3], v[90:93], off
	v_add_nc_u32_e32 v18, 0x80a, v15
	v_mad_u64_u32 v[8:9], null, s3, v10, v[4:5]
	v_add_co_u32 v6, vcc_lo, v0, v6
	v_add_co_ci_u32_e32 v7, vcc_lo, v1, v7, vcc_lo
	v_mad_u64_u32 v[9:10], null, s2, v13, 0
	v_lshlrev_b64 v[2:3], 4, v[11:12]
	global_store_dwordx4 v[6:7], v[94:97], off
	v_mov_b32_e32 v6, v8
	v_mad_u64_u32 v[11:12], null, s2, v14, 0
	v_mov_b32_e32 v4, v10
	v_lshlrev_b64 v[5:6], 4, v[5:6]
	v_add_co_u32 v2, vcc_lo, v0, v2
	v_add_co_ci_u32_e32 v3, vcc_lo, v1, v3, vcc_lo
	v_mov_b32_e32 v7, v12
	v_mad_u64_u32 v[12:13], null, s3, v13, v[4:5]
	v_add_nc_u32_e32 v13, 0x126, v229
	v_add_co_u32 v4, vcc_lo, v0, v5
	v_mad_u64_u32 v[7:8], null, s3, v14, v[7:8]
	v_add_co_ci_u32_e32 v5, vcc_lo, v1, v6, vcc_lo
	v_mul_hi_u32 v6, 0xbf112a8b, v13
	v_add_nc_u32_e32 v14, 0x55c, v15
	v_mov_b32_e32 v10, v12
	global_store_dwordx4 v[2:3], v[58:61], off
	v_mov_b32_e32 v12, v7
	global_store_dwordx4 v[4:5], v[82:85], off
	v_mad_u64_u32 v[4:5], null, s2, v14, 0
	v_lshrrev_b32_e32 v16, 8, v6
	v_lshlrev_b64 v[2:3], 4, v[9:10]
	v_lshlrev_b64 v[6:7], 4, v[11:12]
	v_mad_u64_u32 v[8:9], null, s2, v17, 0
	v_mul_u32_u24_e32 v12, 0x157, v16
	v_add_co_u32 v2, vcc_lo, v0, v2
	v_mad_u64_u32 v[10:11], null, s3, v14, v[5:6]
	v_sub_nc_u32_e32 v13, v13, v12
	v_add_co_ci_u32_e32 v3, vcc_lo, v1, v3, vcc_lo
	v_add_co_u32 v6, vcc_lo, v0, v6
	v_mov_b32_e32 v5, v9
	v_mad_u64_u32 v[11:12], null, s2, v18, 0
	v_mad_u32_u24 v16, 0x961, v16, v13
	global_store_dwordx4 v[2:3], v[78:81], off
	v_mad_u64_u32 v[13:14], null, s3, v17, v[5:6]
	v_mov_b32_e32 v5, v10
	v_mad_u64_u32 v[14:15], null, s2, v16, 0
	v_add_co_ci_u32_e32 v7, vcc_lo, v1, v7, vcc_lo
	v_lshlrev_b64 v[3:4], 4, v[4:5]
	v_mov_b32_e32 v2, v12
	v_mov_b32_e32 v9, v13
	global_store_dwordx4 v[6:7], v[74:77], off
	v_add_nc_u32_e32 v13, 0x157, v16
	v_add_nc_u32_e32 v17, 0x6b3, v16
	v_mad_u64_u32 v[5:6], null, s3, v18, v[2:3]
	v_mov_b32_e32 v2, v15
	v_add_co_u32 v3, vcc_lo, v0, v3
	v_lshlrev_b64 v[6:7], 4, v[8:9]
	v_add_co_ci_u32_e32 v4, vcc_lo, v1, v4, vcc_lo
	v_mad_u64_u32 v[8:9], null, s3, v16, v[2:3]
	v_mad_u64_u32 v[9:10], null, s2, v13, 0
	v_mov_b32_e32 v12, v5
	v_add_co_u32 v5, vcc_lo, v0, v6
	global_store_dwordx4 v[3:4], v[66:69], off
	v_add_co_ci_u32_e32 v6, vcc_lo, v1, v7, vcc_lo
	v_lshlrev_b64 v[3:4], 4, v[11:12]
	v_mov_b32_e32 v2, v10
	v_mov_b32_e32 v15, v8
	global_store_dwordx4 v[5:6], v[70:73], off
	v_add_nc_u32_e32 v11, 0x2ae, v16
	v_add_nc_u32_e32 v12, 0x405, v16
	v_mad_u64_u32 v[7:8], null, s3, v13, v[2:3]
	v_lshlrev_b64 v[5:6], 4, v[14:15]
	v_add_co_u32 v2, vcc_lo, v0, v3
	v_add_co_ci_u32_e32 v3, vcc_lo, v1, v4, vcc_lo
	v_add_nc_u32_e32 v14, 0x55c, v16
	v_add_co_u32 v4, vcc_lo, v0, v5
	v_mov_b32_e32 v10, v7
	v_add_co_ci_u32_e32 v5, vcc_lo, v1, v6, vcc_lo
	v_mad_u64_u32 v[6:7], null, s2, v11, 0
	global_store_dwordx4 v[2:3], v[62:65], off
	v_lshlrev_b64 v[2:3], 4, v[9:10]
	v_mad_u64_u32 v[8:9], null, s2, v14, 0
	global_store_dwordx4 v[4:5], v[30:33], off
	v_mad_u64_u32 v[4:5], null, s2, v12, 0
	v_add_co_u32 v2, vcc_lo, v0, v2
	v_add_nc_u32_e32 v18, 0x80a, v16
	v_mad_u64_u32 v[10:11], null, s3, v11, v[7:8]
	v_add_co_ci_u32_e32 v3, vcc_lo, v1, v3, vcc_lo
	v_mad_u64_u32 v[11:12], null, s3, v12, v[5:6]
	v_mov_b32_e32 v5, v9
	v_mad_u64_u32 v[12:13], null, s2, v17, 0
	global_store_dwordx4 v[2:3], v[54:57], off
	v_mov_b32_e32 v7, v10
	v_mad_u64_u32 v[14:15], null, s3, v14, v[5:6]
	v_mad_u64_u32 v[15:16], null, s2, v18, 0
	v_mov_b32_e32 v2, v13
	v_mov_b32_e32 v5, v11
	v_lshlrev_b64 v[6:7], 4, v[6:7]
	v_mov_b32_e32 v9, v14
	v_mad_u64_u32 v[2:3], null, s3, v17, v[2:3]
	v_lshlrev_b64 v[4:5], 4, v[4:5]
	v_mov_b32_e32 v3, v16
	v_add_co_u32 v6, vcc_lo, v0, v6
	v_add_co_ci_u32_e32 v7, vcc_lo, v1, v7, vcc_lo
	v_mad_u64_u32 v[10:11], null, s3, v18, v[3:4]
	v_mov_b32_e32 v13, v2
	v_lshlrev_b64 v[8:9], 4, v[8:9]
	v_add_co_u32 v2, vcc_lo, v0, v4
	v_add_co_ci_u32_e32 v3, vcc_lo, v1, v5, vcc_lo
	v_mov_b32_e32 v16, v10
	v_lshlrev_b64 v[4:5], 4, v[12:13]
	v_add_co_u32 v8, vcc_lo, v0, v8
	v_add_co_ci_u32_e32 v9, vcc_lo, v1, v9, vcc_lo
	v_lshlrev_b64 v[10:11], 4, v[15:16]
	v_add_co_u32 v4, vcc_lo, v0, v4
	v_add_co_ci_u32_e32 v5, vcc_lo, v1, v5, vcc_lo
	v_add_co_u32 v0, vcc_lo, v0, v10
	v_add_co_ci_u32_e32 v1, vcc_lo, v1, v11, vcc_lo
	global_store_dwordx4 v[6:7], v[50:53], off
	global_store_dwordx4 v[2:3], v[46:49], off
	;; [unrolled: 1-line block ×5, first 2 shown]
.LBB0_15:
	s_endpgm
	.section	.rodata,"a",@progbits
	.p2align	6, 0x0
	.amdhsa_kernel fft_rtc_fwd_len2401_factors_7_7_7_7_wgs_49_tpt_49_halfLds_dp_op_CI_CI_sbrr_dirReg
		.amdhsa_group_segment_fixed_size 0
		.amdhsa_private_segment_fixed_size 580
		.amdhsa_kernarg_size 104
		.amdhsa_user_sgpr_count 6
		.amdhsa_user_sgpr_private_segment_buffer 1
		.amdhsa_user_sgpr_dispatch_ptr 0
		.amdhsa_user_sgpr_queue_ptr 0
		.amdhsa_user_sgpr_kernarg_segment_ptr 1
		.amdhsa_user_sgpr_dispatch_id 0
		.amdhsa_user_sgpr_flat_scratch_init 0
		.amdhsa_user_sgpr_private_segment_size 0
		.amdhsa_wavefront_size32 1
		.amdhsa_uses_dynamic_stack 0
		.amdhsa_system_sgpr_private_segment_wavefront_offset 1
		.amdhsa_system_sgpr_workgroup_id_x 1
		.amdhsa_system_sgpr_workgroup_id_y 0
		.amdhsa_system_sgpr_workgroup_id_z 0
		.amdhsa_system_sgpr_workgroup_info 0
		.amdhsa_system_vgpr_workitem_id 0
		.amdhsa_next_free_vgpr 256
		.amdhsa_next_free_sgpr 40
		.amdhsa_reserve_vcc 1
		.amdhsa_reserve_flat_scratch 0
		.amdhsa_float_round_mode_32 0
		.amdhsa_float_round_mode_16_64 0
		.amdhsa_float_denorm_mode_32 3
		.amdhsa_float_denorm_mode_16_64 3
		.amdhsa_dx10_clamp 1
		.amdhsa_ieee_mode 1
		.amdhsa_fp16_overflow 0
		.amdhsa_workgroup_processor_mode 1
		.amdhsa_memory_ordered 1
		.amdhsa_forward_progress 0
		.amdhsa_shared_vgpr_count 0
		.amdhsa_exception_fp_ieee_invalid_op 0
		.amdhsa_exception_fp_denorm_src 0
		.amdhsa_exception_fp_ieee_div_zero 0
		.amdhsa_exception_fp_ieee_overflow 0
		.amdhsa_exception_fp_ieee_underflow 0
		.amdhsa_exception_fp_ieee_inexact 0
		.amdhsa_exception_int_div_zero 0
	.end_amdhsa_kernel
	.text
.Lfunc_end0:
	.size	fft_rtc_fwd_len2401_factors_7_7_7_7_wgs_49_tpt_49_halfLds_dp_op_CI_CI_sbrr_dirReg, .Lfunc_end0-fft_rtc_fwd_len2401_factors_7_7_7_7_wgs_49_tpt_49_halfLds_dp_op_CI_CI_sbrr_dirReg
                                        ; -- End function
	.section	.AMDGPU.csdata,"",@progbits
; Kernel info:
; codeLenInByte = 41908
; NumSgprs: 42
; NumVgprs: 256
; ScratchSize: 580
; MemoryBound: 1
; FloatMode: 240
; IeeeMode: 1
; LDSByteSize: 0 bytes/workgroup (compile time only)
; SGPRBlocks: 5
; VGPRBlocks: 31
; NumSGPRsForWavesPerEU: 42
; NumVGPRsForWavesPerEU: 256
; Occupancy: 4
; WaveLimiterHint : 1
; COMPUTE_PGM_RSRC2:SCRATCH_EN: 1
; COMPUTE_PGM_RSRC2:USER_SGPR: 6
; COMPUTE_PGM_RSRC2:TRAP_HANDLER: 0
; COMPUTE_PGM_RSRC2:TGID_X_EN: 1
; COMPUTE_PGM_RSRC2:TGID_Y_EN: 0
; COMPUTE_PGM_RSRC2:TGID_Z_EN: 0
; COMPUTE_PGM_RSRC2:TIDIG_COMP_CNT: 0
	.text
	.p2alignl 6, 3214868480
	.fill 48, 4, 3214868480
	.type	__hip_cuid_68711b45481fa95c,@object ; @__hip_cuid_68711b45481fa95c
	.section	.bss,"aw",@nobits
	.globl	__hip_cuid_68711b45481fa95c
__hip_cuid_68711b45481fa95c:
	.byte	0                               ; 0x0
	.size	__hip_cuid_68711b45481fa95c, 1

	.ident	"AMD clang version 19.0.0git (https://github.com/RadeonOpenCompute/llvm-project roc-6.4.0 25133 c7fe45cf4b819c5991fe208aaa96edf142730f1d)"
	.section	".note.GNU-stack","",@progbits
	.addrsig
	.addrsig_sym __hip_cuid_68711b45481fa95c
	.amdgpu_metadata
---
amdhsa.kernels:
  - .args:
      - .actual_access:  read_only
        .address_space:  global
        .offset:         0
        .size:           8
        .value_kind:     global_buffer
      - .offset:         8
        .size:           8
        .value_kind:     by_value
      - .actual_access:  read_only
        .address_space:  global
        .offset:         16
        .size:           8
        .value_kind:     global_buffer
      - .actual_access:  read_only
        .address_space:  global
        .offset:         24
        .size:           8
        .value_kind:     global_buffer
      - .actual_access:  read_only
        .address_space:  global
        .offset:         32
        .size:           8
        .value_kind:     global_buffer
      - .offset:         40
        .size:           8
        .value_kind:     by_value
      - .actual_access:  read_only
        .address_space:  global
        .offset:         48
        .size:           8
        .value_kind:     global_buffer
      - .actual_access:  read_only
        .address_space:  global
        .offset:         56
        .size:           8
        .value_kind:     global_buffer
      - .offset:         64
        .size:           4
        .value_kind:     by_value
      - .actual_access:  read_only
        .address_space:  global
        .offset:         72
        .size:           8
        .value_kind:     global_buffer
      - .actual_access:  read_only
        .address_space:  global
        .offset:         80
        .size:           8
        .value_kind:     global_buffer
      - .actual_access:  read_only
        .address_space:  global
        .offset:         88
        .size:           8
        .value_kind:     global_buffer
      - .actual_access:  write_only
        .address_space:  global
        .offset:         96
        .size:           8
        .value_kind:     global_buffer
    .group_segment_fixed_size: 0
    .kernarg_segment_align: 8
    .kernarg_segment_size: 104
    .language:       OpenCL C
    .language_version:
      - 2
      - 0
    .max_flat_workgroup_size: 49
    .name:           fft_rtc_fwd_len2401_factors_7_7_7_7_wgs_49_tpt_49_halfLds_dp_op_CI_CI_sbrr_dirReg
    .private_segment_fixed_size: 580
    .sgpr_count:     42
    .sgpr_spill_count: 0
    .symbol:         fft_rtc_fwd_len2401_factors_7_7_7_7_wgs_49_tpt_49_halfLds_dp_op_CI_CI_sbrr_dirReg.kd
    .uniform_work_group_size: 1
    .uses_dynamic_stack: false
    .vgpr_count:     256
    .vgpr_spill_count: 240
    .wavefront_size: 32
    .workgroup_processor_mode: 1
amdhsa.target:   amdgcn-amd-amdhsa--gfx1030
amdhsa.version:
  - 1
  - 2
...

	.end_amdgpu_metadata
